;; amdgpu-corpus repo=ROCm/rocFFT kind=compiled arch=gfx950 opt=O3
	.text
	.amdgcn_target "amdgcn-amd-amdhsa--gfx950"
	.amdhsa_code_object_version 6
	.protected	bluestein_single_fwd_len1620_dim1_sp_op_CI_CI ; -- Begin function bluestein_single_fwd_len1620_dim1_sp_op_CI_CI
	.globl	bluestein_single_fwd_len1620_dim1_sp_op_CI_CI
	.p2align	8
	.type	bluestein_single_fwd_len1620_dim1_sp_op_CI_CI,@function
bluestein_single_fwd_len1620_dim1_sp_op_CI_CI: ; @bluestein_single_fwd_len1620_dim1_sp_op_CI_CI
; %bb.0:
	s_load_dwordx4 s[8:11], s[0:1], 0x28
	v_mul_u32_u24_e32 v1, 0x195, v0
	v_mov_b32_e32 v85, 0
	v_add_u32_sdwa v94, s2, v1 dst_sel:DWORD dst_unused:UNUSED_PAD src0_sel:DWORD src1_sel:WORD_1
	v_mov_b32_e32 v95, v85
	s_waitcnt lgkmcnt(0)
	v_cmp_gt_u64_e32 vcc, s[8:9], v[94:95]
	s_and_saveexec_b64 s[2:3], vcc
	s_cbranch_execz .LBB0_36
; %bb.1:
	s_load_dwordx4 s[4:7], s[0:1], 0x18
	s_load_dwordx4 s[12:15], s[0:1], 0x0
	v_mov_b32_e32 v2, s10
	v_mov_b32_e32 v3, s11
	s_movk_i32 s2, 0xa2
	s_waitcnt lgkmcnt(0)
	s_load_dwordx4 s[8:11], s[4:5], 0x0
	v_mul_lo_u16_sdwa v1, v1, s2 dst_sel:DWORD dst_unused:UNUSED_PAD src0_sel:WORD_1 src1_sel:DWORD
	v_sub_u16_e32 v84, v0, v1
	v_mov_b32_e32 v22, 0x510
	v_lshlrev_b32_e32 v82, 3, v84
	s_waitcnt lgkmcnt(0)
	v_mad_u64_u32 v[0:1], s[2:3], s10, v94, 0
	v_mov_b32_e32 v4, v1
	v_mad_u64_u32 v[4:5], s[2:3], s11, v94, v[4:5]
	v_mov_b32_e32 v1, v4
	v_mad_u64_u32 v[4:5], s[2:3], s8, v84, 0
	v_mov_b32_e32 v6, v5
	v_mad_u64_u32 v[6:7], s[2:3], s9, v84, v[6:7]
	v_mov_b32_e32 v5, v6
	v_lshl_add_u64 v[0:1], v[0:1], 3, v[2:3]
	v_lshl_add_u64 v[0:1], v[4:5], 3, v[0:1]
	global_load_dwordx2 v[2:3], v[0:1], off
	v_mad_u64_u32 v[0:1], s[2:3], s8, v22, v[0:1]
	s_mul_i32 s4, s9, 0x510
	v_add_u32_e32 v1, s4, v1
	v_mad_u64_u32 v[6:7], s[2:3], s8, v22, v[0:1]
	v_add_u32_e32 v7, s4, v7
	v_mad_u64_u32 v[8:9], s[2:3], s8, v22, v[6:7]
	v_add_u32_e32 v9, s4, v9
	v_mov_b32_e32 v83, v85
	v_mad_u64_u32 v[10:11], s[2:3], s8, v22, v[8:9]
	v_lshl_add_u64 v[4:5], s[12:13], 0, v[82:83]
	v_add_u32_e32 v11, s4, v11
	s_movk_i32 s2, 0x1000
	global_load_dwordx2 v[106:107], v82, s[12:13]
	global_load_dwordx2 v[104:105], v82, s[12:13] offset:1296
	global_load_dwordx2 v[100:101], v82, s[12:13] offset:2592
	;; [unrolled: 1-line block ×3, first 2 shown]
	global_load_dwordx2 v[12:13], v[0:1], off
	global_load_dwordx2 v[14:15], v[6:7], off
	;; [unrolled: 1-line block ×4, first 2 shown]
	v_add_co_u32_e32 v0, vcc, s2, v4
	v_mad_u64_u32 v[6:7], s[2:3], s8, v22, v[10:11]
	v_add_u32_e32 v7, s4, v7
	global_load_dwordx2 v[8:9], v[6:7], off
	v_mad_u64_u32 v[6:7], s[2:3], s8, v22, v[6:7]
	v_addc_co_u32_e32 v1, vcc, 0, v5, vcc
	v_add_u32_e32 v7, s4, v7
	global_load_dwordx2 v[102:103], v[0:1], off offset:1088
	global_load_dwordx2 v[10:11], v[6:7], off
	global_load_dwordx2 v[98:99], v[0:1], off offset:2384
	global_load_dwordx2 v[90:91], v[0:1], off offset:3680
	v_mad_u64_u32 v[0:1], s[2:3], s8, v22, v[6:7]
	s_movk_i32 s2, 0x2000
	v_add_u32_e32 v1, s4, v1
	v_add_co_u32_e32 v4, vcc, s2, v4
	global_load_dwordx2 v[6:7], v[0:1], off
	s_nop 0
	v_addc_co_u32_e32 v5, vcc, 0, v5, vcc
	v_mad_u64_u32 v[0:1], s[2:3], s8, v22, v[0:1]
	global_load_dwordx2 v[92:93], v[4:5], off offset:880
	v_add_u32_e32 v1, s4, v1
	global_load_dwordx2 v[20:21], v[0:1], off
	global_load_dwordx2 v[88:89], v[4:5], off offset:2176
	v_mad_u64_u32 v[0:1], s[2:3], s8, v22, v[0:1]
	v_add_u32_e32 v1, s4, v1
	global_load_dwordx2 v[86:87], v[4:5], off offset:3472
	global_load_dwordx2 v[22:23], v[0:1], off
	v_add_u32_e32 v4, 0x800, v82
	v_add_u32_e32 v44, 0x1400, v82
	s_load_dwordx4 s[8:11], s[6:7], 0x0
	s_mov_b32 s6, 0x3f737871
	s_mov_b32 s4, 0x3f167918
	;; [unrolled: 1-line block ×3, first 2 shown]
	s_load_dwordx2 s[16:17], s[0:1], 0x38
	s_mov_b32 s0, 0x3f4f1bbd
	v_cmp_gt_u16_e32 vcc, 54, v84
	s_waitcnt vmcnt(18)
	v_mul_f32_e32 v0, v3, v107
	v_mul_f32_e32 v1, v2, v107
	v_fmac_f32_e32 v0, v2, v106
	v_fma_f32 v1, v3, v106, -v1
	s_waitcnt vmcnt(14)
	v_mul_f32_e32 v2, v13, v105
	v_mul_f32_e32 v3, v12, v105
	v_fmac_f32_e32 v2, v12, v104
	v_fma_f32 v3, v13, v104, -v3
	ds_write2_b64 v82, v[0:1], v[2:3] offset1:162
	s_waitcnt vmcnt(13)
	v_mul_f32_e32 v0, v15, v101
	v_mul_f32_e32 v1, v14, v101
	s_waitcnt vmcnt(12)
	v_mul_f32_e32 v2, v17, v97
	v_mul_f32_e32 v3, v16, v97
	v_fmac_f32_e32 v0, v14, v100
	v_fma_f32 v1, v15, v100, -v1
	v_fmac_f32_e32 v2, v16, v96
	v_fma_f32 v3, v17, v96, -v3
	ds_write2_b64 v4, v[0:1], v[2:3] offset0:68 offset1:230
	s_waitcnt vmcnt(9)
	v_mul_f32_e32 v0, v19, v103
	v_mul_f32_e32 v1, v18, v103
	s_waitcnt vmcnt(7)
	v_mul_f32_e32 v2, v9, v99
	v_mul_f32_e32 v3, v8, v99
	v_fmac_f32_e32 v0, v18, v102
	v_fma_f32 v1, v19, v102, -v1
	v_fmac_f32_e32 v2, v8, v98
	v_fma_f32 v3, v9, v98, -v3
	ds_write2_b64 v44, v[0:1], v[2:3] offset0:8 offset1:170
	s_waitcnt vmcnt(6)
	v_mul_f32_e32 v0, v11, v91
	v_mul_f32_e32 v1, v10, v91
	s_waitcnt vmcnt(4)
	v_mul_f32_e32 v2, v7, v93
	v_mul_f32_e32 v3, v6, v93
	v_fmac_f32_e32 v0, v10, v90
	v_fma_f32 v1, v11, v90, -v1
	v_fmac_f32_e32 v2, v6, v92
	v_fma_f32 v3, v7, v92, -v3
	v_add_u32_e32 v16, 0x1c00, v82
	ds_write2_b64 v16, v[0:1], v[2:3] offset0:76 offset1:238
	s_waitcnt vmcnt(2)
	v_mul_f32_e32 v0, v21, v89
	v_mul_f32_e32 v1, v20, v89
	s_waitcnt vmcnt(0)
	v_mul_f32_e32 v2, v23, v87
	v_mul_f32_e32 v3, v22, v87
	v_fmac_f32_e32 v0, v20, v88
	v_fma_f32 v1, v21, v88, -v1
	v_fmac_f32_e32 v2, v22, v86
	v_fma_f32 v3, v23, v86, -v3
	v_add_u32_e32 v12, 0x2800, v82
	ds_write2_b64 v12, v[0:1], v[2:3] offset0:16 offset1:178
	s_waitcnt lgkmcnt(0)
	s_barrier
	ds_read2_b64 v[0:3], v82 offset1:162
	ds_read2_b64 v[4:7], v4 offset0:68 offset1:230
	ds_read2_b64 v[8:11], v44 offset0:8 offset1:170
	;; [unrolled: 1-line block ×4, first 2 shown]
	s_waitcnt lgkmcnt(0)
	v_pk_add_f32 v[20:21], v[0:1], v[4:5]
	v_pk_add_f32 v[22:23], v[2:3], v[6:7]
	;; [unrolled: 1-line block ×4, first 2 shown]
	v_pk_add_f32 v[26:27], v[4:5], v[8:9] neg_lo:[0,1] neg_hi:[0,1]
	v_pk_add_f32 v[28:29], v[4:5], v[12:13] neg_lo:[0,1] neg_hi:[0,1]
	v_pk_add_f32 v[30:31], v[4:5], v[12:13]
	v_pk_add_f32 v[4:5], v[8:9], v[4:5] neg_lo:[0,1] neg_hi:[0,1]
	v_pk_add_f32 v[34:35], v[6:7], v[14:15]
	v_pk_add_f32 v[36:37], v[8:9], v[16:17]
	v_pk_add_f32 v[8:9], v[8:9], v[16:17] neg_lo:[0,1] neg_hi:[0,1]
	v_pk_add_f32 v[38:39], v[10:11], v[18:19] neg_lo:[0,1] neg_hi:[0,1]
	v_pk_add_f32 v[20:21], v[20:21], v[16:17]
	v_pk_add_f32 v[22:23], v[22:23], v[18:19]
	v_pk_add_f32 v[42:43], v[12:13], v[16:17] neg_lo:[0,1] neg_hi:[0,1]
	v_pk_add_f32 v[16:17], v[16:17], v[12:13] neg_lo:[0,1] neg_hi:[0,1]
	;; [unrolled: 1-line block ×5, first 2 shown]
	v_pk_add_f32 v[10:11], v[10:11], v[18:19]
	v_pk_add_f32 v[40:41], v[14:15], v[18:19] neg_lo:[0,1] neg_hi:[0,1]
	v_pk_add_f32 v[18:19], v[18:19], v[14:15] neg_lo:[0,1] neg_hi:[0,1]
	v_pk_add_f32 v[14:15], v[22:23], v[14:15]
	v_pk_fma_f32 v[22:23], v[34:35], 0.5, v[2:3] op_sel_hi:[1,0,1] neg_lo:[1,0,0] neg_hi:[1,0,0]
	v_pk_add_f32 v[4:5], v[4:5], v[16:17]
	v_pk_mul_f32 v[16:17], v[38:39], s[6:7] op_sel_hi:[1,0]
	v_pk_add_f32 v[12:13], v[20:21], v[12:13]
	v_pk_fma_f32 v[20:21], v[36:37], 0.5, v[0:1] op_sel_hi:[1,0,1] neg_lo:[1,0,0] neg_hi:[1,0,0]
	v_pk_fma_f32 v[0:1], v[30:31], 0.5, v[0:1] op_sel_hi:[1,0,1] neg_lo:[1,0,0] neg_hi:[1,0,0]
	v_pk_fma_f32 v[2:3], v[10:11], 0.5, v[2:3] op_sel_hi:[1,0,1] neg_lo:[1,0,0] neg_hi:[1,0,0]
	v_pk_add_f32 v[10:11], v[24:25], v[40:41]
	v_pk_add_f32 v[24:25], v[26:27], v[42:43]
	v_pk_mul_f32 v[26:27], v[32:33], s[4:5] op_sel_hi:[1,0]
	v_pk_add_f32 v[30:31], v[22:23], v[16:17] op_sel:[0,1] op_sel_hi:[1,0] neg_lo:[0,1] neg_hi:[0,1]
	v_pk_add_f32 v[16:17], v[22:23], v[16:17] op_sel:[0,1] op_sel_hi:[1,0]
	v_pk_add_f32 v[22:23], v[30:31], v[26:27] op_sel:[0,1] op_sel_hi:[1,0]
	v_pk_add_f32 v[16:17], v[16:17], v[26:27] op_sel:[0,1] op_sel_hi:[1,0] neg_lo:[0,1] neg_hi:[0,1]
	v_pk_add_f32 v[6:7], v[6:7], v[18:19]
	v_mov_b32_e32 v26, v22
	v_mov_b32_e32 v27, v17
	v_pk_fma_f32 v[26:27], v[6:7], s[2:3], v[26:27] op_sel_hi:[1,0,1]
	v_pk_fma_f32 v[18:19], v[32:33], s[6:7], v[2:3] op_sel:[0,0,1] op_sel_hi:[1,0,0]
	v_pk_mul_f32 v[30:31], v[26:27], s[6:7] op_sel_hi:[1,0]
	v_pk_fma_f32 v[2:3], v[32:33], s[6:7], v[2:3] op_sel:[0,0,1] op_sel_hi:[1,0,0] neg_lo:[1,0,0] neg_hi:[1,0,0]
	v_pk_fma_f32 v[32:33], v[26:27], s[2:3], v[30:31] op_sel:[0,0,1] op_sel_hi:[1,0,0]
	v_pk_fma_f32 v[26:27], v[26:27], s[2:3], v[30:31] op_sel:[0,0,1] op_sel_hi:[1,0,0] neg_lo:[0,0,1] neg_hi:[0,0,1]
	v_pk_fma_f32 v[2:3], v[38:39], s[4:5], v[2:3] op_sel_hi:[1,0,1] neg_lo:[1,0,0] neg_hi:[1,0,0]
	v_mov_b32_e32 v33, v27
	v_pk_mul_f32 v[26:27], v[28:29], s[6:7] op_sel_hi:[1,0]
	v_pk_fma_f32 v[18:19], v[38:39], s[4:5], v[18:19] op_sel_hi:[1,0,1]
	v_pk_add_f32 v[30:31], v[20:21], v[26:27] op_sel:[0,1] op_sel_hi:[1,0] neg_lo:[0,1] neg_hi:[0,1]
	v_pk_add_f32 v[20:21], v[20:21], v[26:27] op_sel:[0,1] op_sel_hi:[1,0]
	v_pk_fma_f32 v[26:27], v[8:9], s[4:5], v[30:31] op_sel:[1,0,0] op_sel_hi:[0,0,1] neg_lo:[1,0,0] neg_hi:[1,0,0]
	v_pk_fma_f32 v[20:21], v[8:9], s[4:5], v[20:21] op_sel:[1,0,0] op_sel_hi:[0,0,1]
	v_pk_fma_f32 v[30:31], v[8:9], s[6:7], v[0:1] op_sel:[1,0,0] op_sel_hi:[0,0,1] neg_lo:[1,0,0] neg_hi:[1,0,0]
	v_pk_fma_f32 v[0:1], v[8:9], s[6:7], v[0:1] op_sel:[1,0,0] op_sel_hi:[0,0,1]
	v_mul_lo_u16_e32 v8, 10, v84
	v_lshlrev_b32_e32 v83, 3, v8
	v_pk_mul_f32 v[8:9], v[10:11], s[2:3] op_sel_hi:[1,0]
	v_pk_mul_f32 v[10:11], v[28:29], s[4:5] op_sel_hi:[1,0]
	s_mov_b32 s5, 0xbf167918
	v_pk_add_f32 v[28:29], v[0:1], v[10:11] op_sel:[0,1] op_sel_hi:[1,0] neg_lo:[0,1] neg_hi:[0,1]
	v_mov_b32_e32 v0, v18
	v_mov_b32_e32 v1, v3
	v_pk_add_f32 v[0:1], v[8:9], v[0:1] op_sel:[1,0] op_sel_hi:[0,1]
	v_pk_add_f32 v[18:19], v[8:9], v[18:19] op_sel:[1,0] op_sel_hi:[0,1]
	;; [unrolled: 1-line block ×3, first 2 shown]
	v_pk_mul_f32 v[8:9], v[0:1], s[0:1] op_sel_hi:[1,0]
	s_mov_b32 s1, s4
	v_pk_fma_f32 v[8:9], v[0:1], s[4:5], v[8:9] op_sel:[0,0,1] op_sel_hi:[1,1,0] neg_lo:[0,0,1] neg_hi:[0,0,1]
	v_mov_b32_e32 v0, v26
	v_mov_b32_e32 v1, v21
	v_pk_add_f32 v[10:11], v[30:31], v[10:11] op_sel:[0,1] op_sel_hi:[1,0]
	v_pk_fma_f32 v[30:31], v[24:25], s[2:3], v[0:1] op_sel_hi:[1,0,1]
	v_pk_mul_f32 v[0:1], v[18:19], s[0:1] op_sel:[1,0]
	s_mov_b32 s5, s0
	v_mov_b32_e32 v21, v27
	v_pk_fma_f32 v[18:19], v[2:3], s[4:5], v[0:1]
	v_pk_fma_f32 v[2:3], v[2:3], s[4:5], v[0:1] op_sel_hi:[0,1,1] neg_lo:[0,0,1] neg_hi:[0,0,1]
	v_pk_fma_f32 v[24:25], v[24:25], s[2:3], v[20:21] op_sel_hi:[1,0,1]
	v_mov_b32_e32 v19, v3
	v_mov_b32_e32 v2, v10
	v_mov_b32_e32 v3, v29
	v_pk_add_f32 v[0:1], v[12:13], v[14:15]
	v_pk_fma_f32 v[26:27], v[4:5], s[2:3], v[2:3] op_sel_hi:[1,0,1]
	v_pk_add_f32 v[2:3], v[24:25], v[18:19]
	v_mov_b32_e32 v17, v23
	s_barrier
	ds_write_b128 v83, v[0:3]
	v_pk_fma_f32 v[2:3], v[6:7], s[2:3], v[16:17] op_sel_hi:[1,0,1]
	s_mov_b32 s0, 0xbf737871
	s_mov_b32 s1, s6
	v_pk_mul_f32 v[6:7], v[2:3], s[2:3] op_sel_hi:[1,0]
	v_mov_b32_e32 v29, v11
	v_pk_fma_f32 v[6:7], v[2:3], s[0:1], v[6:7] op_sel:[0,0,1] op_sel_hi:[1,1,0] neg_lo:[0,0,1] neg_hi:[0,0,1]
	v_pk_fma_f32 v[4:5], v[4:5], s[2:3], v[28:29] op_sel_hi:[1,0,1]
	v_pk_add_f32 v[0:1], v[26:27], v[32:33]
	v_pk_add_f32 v[2:3], v[4:5], v[6:7] op_sel:[0,1] op_sel_hi:[1,0]
	ds_write_b128 v83, v[0:3] offset:16
	v_pk_add_f32 v[0:1], v[30:31], v[8:9]
	v_pk_add_f32 v[2:3], v[12:13], v[14:15] neg_lo:[0,1] neg_hi:[0,1]
	ds_write_b128 v83, v[0:3] offset:32
	v_pk_add_f32 v[0:1], v[24:25], v[18:19] neg_lo:[0,1] neg_hi:[0,1]
	v_pk_add_f32 v[2:3], v[26:27], v[32:33] neg_lo:[0,1] neg_hi:[0,1]
	;; [unrolled: 1-line block ×3, first 2 shown]
	ds_write_b128 v83, v[0:3] offset:48
	v_pk_add_f32 v[18:19], v[4:5], v[6:7] op_sel:[0,1] op_sel_hi:[1,0] neg_lo:[0,1] neg_hi:[0,1]
	v_add_u32_e32 v0, 0xa00, v82
	ds_write_b128 v83, v[18:21] offset:64
	s_waitcnt lgkmcnt(0)
	s_barrier
	ds_read2_b64 v[16:19], v0 offset0:4 offset1:220
	v_add_u32_e32 v0, 0x2000, v82
	ds_read2_b64 v[26:29], v82 offset1:162
	ds_read2_b64 v[30:33], v0 offset0:56 offset1:218
	ds_read2_b64 v[22:25], v44 offset0:62 offset1:224
	ds_read_b64 v[34:35], v82 offset:11232
	v_cmp_lt_u16_e64 s[0:1], 53, v84
                                        ; implicit-def: $vgpr36
                                        ; implicit-def: $vgpr40
                                        ; implicit-def: $vgpr38
                                        ; implicit-def: $vgpr42
	s_and_saveexec_b64 s[2:3], vcc
	s_cbranch_execz .LBB0_3
; %bb.2:
	ds_read_b64 v[36:37], v82 offset:8208
	ds_read_b64 v[38:39], v82 offset:12528
	;; [unrolled: 1-line block ×3, first 2 shown]
	s_waitcnt lgkmcnt(2)
	v_mov_b32_e32 v40, v37
	s_waitcnt lgkmcnt(1)
	v_mov_b32_e32 v42, v39
.LBB0_3:
	s_or_b64 exec, exec, s[2:3]
	s_mov_b64 s[2:3], 0x1e6
	v_lshl_add_u64 v[48:49], v[84:85], 0, s[2:3]
	s_movk_i32 s2, 0xcd
	v_mul_lo_u16_sdwa v0, v84, s2 dst_sel:DWORD dst_unused:UNUSED_PAD src0_sel:BYTE_0 src1_sel:DWORD
	v_lshrrev_b16_e32 v37, 11, v0
	v_mul_lo_u16_e32 v0, 10, v37
	v_sub_u16_e32 v0, v84, v0
	s_mov_b32 s4, 0xcccd
	v_and_b32_e32 v39, 0xff, v0
	v_mul_u32_u24_sdwa v0, v48, s4 dst_sel:DWORD dst_unused:UNUSED_PAD src0_sel:WORD_0 src1_sel:DWORD
	s_mov_b64 s[2:3], 0xa2
	v_lshrrev_b32_e32 v58, 19, v0
	v_lshl_add_u64 v[50:51], v[84:85], 0, s[2:3]
	v_mul_lo_u16_e32 v0, 10, v58
	v_mul_u32_u24_sdwa v8, v50, s4 dst_sel:DWORD dst_unused:UNUSED_PAD src0_sel:WORD_0 src1_sel:DWORD
	v_sub_u16_e32 v59, v48, v0
	v_lshrrev_b32_e32 v41, 19, v8
	v_lshlrev_b16_e32 v0, 1, v59
	v_mul_lo_u16_e32 v8, 10, v41
	v_lshlrev_b32_e32 v4, 4, v39
	v_lshlrev_b32_e32 v0, 3, v0
	v_sub_u16_e32 v43, v50, v8
	global_load_dwordx4 v[0:3], v0, s[14:15]
	v_lshlrev_b16_e32 v8, 1, v43
	global_load_dwordx4 v[4:7], v4, s[14:15]
	v_lshlrev_b32_e32 v8, 3, v8
	global_load_dwordx4 v[8:11], v8, s[14:15]
	s_mov_b64 s[2:3], 0x144
	v_lshl_add_u64 v[60:61], v[84:85], 0, s[2:3]
	v_mul_u32_u24_sdwa v12, v60, s4 dst_sel:DWORD dst_unused:UNUSED_PAD src0_sel:WORD_0 src1_sel:DWORD
	v_lshrrev_b32_e32 v62, 19, v12
	v_mul_lo_u16_e32 v12, 10, v62
	v_sub_u16_e32 v63, v60, v12
	v_lshlrev_b16_e32 v12, 1, v63
	v_lshlrev_b32_e32 v12, 3, v12
	global_load_dwordx4 v[12:15], v12, s[14:15]
	v_mul_u32_u24_e32 v37, 30, v37
	v_add_lshl_u32 v95, v37, v39, 3
	v_mad_legacy_u16 v37, v41, 30, v43
	v_lshlrev_b32_e32 v135, 3, v37
	s_mov_b32 s2, 0x3f5db3d7
	s_waitcnt lgkmcnt(0)
	s_barrier
	v_mad_legacy_u16 v139, v58, 30, v59
	s_waitcnt vmcnt(3)
	v_pk_mul_f32 v[40:41], v[40:41], v[0:1] op_sel_hi:[0,1]
	v_pk_mul_f32 v[42:43], v[42:43], v[2:3] op_sel_hi:[0,1]
	s_waitcnt vmcnt(2)
	v_pk_mul_f32 v[44:45], v[18:19], v[4:5] op_sel:[0,1]
	v_mov_b32_e32 v46, v7
	v_pk_fma_f32 v[52:53], v[18:19], v[4:5], v[44:45] op_sel:[0,0,1] op_sel_hi:[1,1,0] neg_lo:[0,0,1] neg_hi:[0,0,1]
	v_pk_fma_f32 v[18:19], v[18:19], v[4:5], v[44:45] op_sel:[0,0,1] op_sel_hi:[1,0,0]
	v_pk_mul_f32 v[44:45], v[30:31], v[46:47] op_sel_hi:[1,0]
	s_waitcnt vmcnt(1)
	v_pk_mul_f32 v[46:47], v[22:23], v[8:9] op_sel:[0,1]
	v_mov_b32_e32 v18, v11
	v_pk_fma_f32 v[54:55], v[36:37], v[0:1], v[40:41] op_sel:[0,0,1] op_sel_hi:[1,1,0] neg_lo:[0,0,1] neg_hi:[0,0,1]
	v_pk_fma_f32 v[36:37], v[36:37], v[0:1], v[40:41] op_sel:[0,0,1] op_sel_hi:[0,1,0]
	v_pk_fma_f32 v[40:41], v[38:39], v[2:3], v[42:43] op_sel:[0,0,1] op_sel_hi:[1,1,0] neg_lo:[0,0,1] neg_hi:[0,0,1]
	v_pk_fma_f32 v[38:39], v[38:39], v[2:3], v[42:43] op_sel:[0,0,1] op_sel_hi:[0,1,0]
	v_mov_b32_e32 v53, v19
	v_pk_fma_f32 v[42:43], v[30:31], v[6:7], v[44:45] op_sel:[0,0,1] op_sel_hi:[1,1,0] neg_lo:[0,0,1] neg_hi:[0,0,1]
	v_pk_fma_f32 v[30:31], v[30:31], v[6:7], v[44:45] op_sel:[0,0,1] op_sel_hi:[1,0,0]
	v_pk_fma_f32 v[44:45], v[22:23], v[8:9], v[46:47] op_sel:[0,0,1] op_sel_hi:[1,1,0] neg_lo:[0,0,1] neg_hi:[0,0,1]
	v_pk_fma_f32 v[22:23], v[22:23], v[8:9], v[46:47] op_sel:[0,0,1] op_sel_hi:[1,0,0]
	v_pk_mul_f32 v[18:19], v[32:33], v[18:19] op_sel_hi:[1,0]
	v_mov_b32_e32 v55, v37
	v_mov_b32_e32 v41, v39
	;; [unrolled: 1-line block ×3, first 2 shown]
	v_pk_add_f32 v[30:31], v[26:27], v[52:53]
	v_mov_b32_e32 v45, v23
	v_pk_fma_f32 v[22:23], v[32:33], v[10:11], v[18:19] op_sel:[0,0,1] op_sel_hi:[1,1,0] neg_lo:[0,0,1] neg_hi:[0,0,1]
	v_pk_fma_f32 v[18:19], v[32:33], v[10:11], v[18:19] op_sel:[0,0,1] op_sel_hi:[1,0,0]
	v_pk_add_f32 v[32:33], v[20:21], v[54:55]
	v_pk_add_f32 v[30:31], v[30:31], v[42:43]
	;; [unrolled: 1-line block ×3, first 2 shown]
	v_pk_add_f32 v[38:39], v[52:53], v[42:43] neg_lo:[0,1] neg_hi:[0,1]
	v_pk_add_f32 v[42:43], v[54:55], v[40:41]
	v_pk_add_f32 v[46:47], v[54:55], v[40:41] neg_lo:[0,1] neg_hi:[0,1]
	v_mov_b32_e32 v23, v19
	v_pk_add_f32 v[52:53], v[32:33], v[40:41]
	v_pk_fma_f32 v[18:19], v[42:43], 0.5, v[20:21] op_sel_hi:[1,0,1] neg_lo:[1,0,0] neg_hi:[1,0,0]
	v_pk_mul_f32 v[20:21], v[46:47], s[2:3] op_sel_hi:[1,0]
	v_pk_fma_f32 v[26:27], v[36:37], 0.5, v[26:27] op_sel_hi:[1,0,1] neg_lo:[1,0,0] neg_hi:[1,0,0]
	v_pk_mul_f32 v[32:33], v[38:39], s[2:3] op_sel_hi:[1,0]
	v_pk_add_f32 v[54:55], v[18:19], v[20:21] op_sel:[0,1] op_sel_hi:[1,0] neg_lo:[0,1] neg_hi:[0,1]
	v_pk_add_f32 v[56:57], v[20:21], v[18:19] op_sel:[1,0] op_sel_hi:[0,1]
	v_pk_add_f32 v[18:19], v[26:27], v[32:33] op_sel:[0,1] op_sel_hi:[1,0]
	v_pk_add_f32 v[20:21], v[26:27], v[32:33] op_sel:[0,1] op_sel_hi:[1,0] neg_lo:[0,1] neg_hi:[0,1]
	v_pk_add_f32 v[36:37], v[44:45], v[22:23]
	v_mov_b32_e32 v32, v18
	v_mov_b32_e32 v33, v21
	;; [unrolled: 1-line block ×3, first 2 shown]
	v_pk_add_f32 v[18:19], v[44:45], v[22:23] neg_lo:[0,1] neg_hi:[0,1]
	v_pk_fma_f32 v[26:27], v[36:37], 0.5, v[28:29] op_sel_hi:[1,0,1] neg_lo:[1,0,0] neg_hi:[1,0,0]
	v_pk_mul_f32 v[18:19], v[18:19], s[2:3] op_sel_hi:[1,0]
	ds_write2_b64 v95, v[30:31], v[32:33] offset1:10
	ds_write_b64 v95, v[20:21] offset:160
	v_pk_add_f32 v[20:21], v[26:27], v[18:19] op_sel:[0,1] op_sel_hi:[1,0] neg_lo:[0,1] neg_hi:[0,1]
	v_pk_add_f32 v[18:19], v[26:27], v[18:19] op_sel:[0,1] op_sel_hi:[1,0]
	v_pk_add_f32 v[26:27], v[28:29], v[44:45]
	s_nop 0
	v_pk_add_f32 v[22:23], v[26:27], v[22:23]
	v_mov_b32_e32 v26, v18
	v_mad_legacy_u16 v18, v62, 30, v63
	v_mov_b32_e32 v27, v21
	v_mov_b32_e32 v21, v19
	v_lshlrev_b32_e32 v138, 3, v18
	s_waitcnt vmcnt(0)
	v_pk_mul_f32 v[18:19], v[24:25], v[12:13] op_sel:[0,1]
	ds_write_b64 v135, v[20:21] offset:160
	v_pk_fma_f32 v[20:21], v[24:25], v[12:13], v[18:19] op_sel:[0,0,1] op_sel_hi:[1,1,0] neg_lo:[0,0,1] neg_hi:[0,0,1]
	v_pk_fma_f32 v[18:19], v[24:25], v[12:13], v[18:19] op_sel:[0,0,1] op_sel_hi:[1,0,0]
	ds_write2_b64 v135, v[22:23], v[26:27] offset1:10
	v_mov_b32_e32 v18, v15
	v_mov_b32_e32 v21, v19
	v_pk_mul_f32 v[18:19], v[34:35], v[18:19] op_sel_hi:[1,0]
	s_nop 0
	v_pk_fma_f32 v[22:23], v[34:35], v[14:15], v[18:19] op_sel:[0,0,1] op_sel_hi:[1,1,0] neg_lo:[0,0,1] neg_hi:[0,0,1]
	v_pk_fma_f32 v[18:19], v[34:35], v[14:15], v[18:19] op_sel:[0,0,1] op_sel_hi:[1,0,0]
	s_nop 0
	v_mov_b32_e32 v23, v19
	v_pk_add_f32 v[18:19], v[20:21], v[22:23]
	v_pk_add_f32 v[24:25], v[20:21], v[22:23] neg_lo:[0,1] neg_hi:[0,1]
	v_pk_fma_f32 v[18:19], v[18:19], 0.5, v[16:17] op_sel_hi:[1,0,1] neg_lo:[1,0,0] neg_hi:[1,0,0]
	v_pk_mul_f32 v[24:25], v[24:25], s[2:3] op_sel_hi:[1,0]
	v_pk_add_f32 v[16:17], v[16:17], v[20:21]
	v_pk_add_f32 v[26:27], v[18:19], v[24:25] op_sel:[0,1] op_sel_hi:[1,0] neg_lo:[0,1] neg_hi:[0,1]
	v_pk_add_f32 v[18:19], v[18:19], v[24:25] op_sel:[0,1] op_sel_hi:[1,0]
	v_pk_add_f32 v[16:17], v[16:17], v[22:23]
	v_mov_b32_e32 v20, v18
	v_mov_b32_e32 v21, v27
	;; [unrolled: 1-line block ×3, first 2 shown]
	ds_write2_b64 v138, v[16:17], v[20:21] offset1:10
	ds_write_b64 v138, v[26:27] offset:160
	s_and_saveexec_b64 s[2:3], vcc
	s_cbranch_execz .LBB0_5
; %bb.4:
	v_lshlrev_b32_e32 v18, 3, v139
	v_mov_b32_e32 v16, v56
	v_mov_b32_e32 v17, v55
	ds_write2_b64 v18, v[52:53], v[16:17] offset1:10
	v_mov_b32_e32 v16, v54
	v_mov_b32_e32 v17, v57
	ds_write_b64 v18, v[16:17] offset:160
.LBB0_5:
	s_or_b64 exec, exec, s[2:3]
	v_add_u32_e32 v16, 0xa00, v82
	s_waitcnt lgkmcnt(0)
	s_barrier
	ds_read2_b64 v[44:47], v16 offset0:4 offset1:220
	v_add_u32_e32 v16, 0x2000, v82
	ds_read2_b64 v[36:39], v16 offset0:56 offset1:218
	v_add_u32_e32 v16, 0x1400, v82
	ds_read2_b64 v[32:35], v82 offset1:162
	ds_read2_b64 v[40:43], v16 offset0:62 offset1:224
	ds_read_b64 v[58:59], v82 offset:11232
	s_and_saveexec_b64 s[2:3], s[0:1]
	s_xor_b64 s[2:3], exec, s[2:3]
	s_andn2_saveexec_b64 s[2:3], s[2:3]
	s_cbranch_execz .LBB0_7
; %bb.6:
	ds_read_b64 v[16:17], v82 offset:8208
	ds_read_b64 v[54:55], v82 offset:12528
	;; [unrolled: 1-line block ×3, first 2 shown]
	s_waitcnt lgkmcnt(2)
	v_mov_b32_e32 v56, v16
	s_waitcnt lgkmcnt(1)
	v_mov_b32_e32 v57, v55
	v_mov_b32_e32 v55, v17
.LBB0_7:
	s_or_b64 exec, exec, s[2:3]
	s_movk_i32 s2, 0x89
	v_mul_lo_u16_sdwa v16, v84, s2 dst_sel:DWORD dst_unused:UNUSED_PAD src0_sel:BYTE_0 src1_sel:DWORD
	v_lshrrev_b16_e32 v62, 12, v16
	v_mul_lo_u16_e32 v16, 30, v62
	v_sub_u16_e32 v16, v84, v16
	s_mov_b32 s2, 0x8889
	v_and_b32_e32 v63, 0xff, v16
	v_mul_u32_u24_sdwa v16, v50, s2 dst_sel:DWORD dst_unused:UNUSED_PAD src0_sel:WORD_0 src1_sel:DWORD
	v_lshrrev_b32_e32 v64, 20, v16
	v_mul_lo_u16_e32 v16, 30, v64
	v_sub_u16_e32 v65, v50, v16
	v_lshlrev_b16_e32 v16, 4, v65
	v_mov_b32_e32 v17, 0
	v_lshl_add_u64 v[18:19], s[14:15], 0, v[16:17]
	v_mul_u32_u24_sdwa v16, v60, s2 dst_sel:DWORD dst_unused:UNUSED_PAD src0_sel:WORD_0 src1_sel:DWORD
	v_lshrrev_b32_e32 v78, 20, v16
	v_mul_lo_u16_e32 v16, 30, v78
	v_sub_u16_e32 v79, v60, v16
	v_lshlrev_b32_e32 v28, 4, v63
	v_lshlrev_b16_e32 v16, 4, v79
	global_load_dwordx4 v[24:27], v28, s[14:15] offset:160
	global_load_dwordx4 v[20:23], v[18:19], off offset:160
	v_lshl_add_u64 v[18:19], s[14:15], 0, v[16:17]
	v_mul_u32_u24_sdwa v16, v48, s2 dst_sel:DWORD dst_unused:UNUSED_PAD src0_sel:WORD_0 src1_sel:DWORD
	v_lshrrev_b32_e32 v119, 20, v16
	v_mul_lo_u16_e32 v16, 30, v119
	v_sub_u16_e32 v134, v48, v16
	v_lshlrev_b16_e32 v16, 4, v134
	global_load_dwordx4 v[28:31], v[18:19], off offset:160
	v_lshl_add_u64 v[16:17], s[14:15], 0, v[16:17]
	global_load_dwordx4 v[16:19], v[16:17], off offset:160
	s_movk_i32 s4, 0x5a
	v_mul_u32_u24_e32 v62, 0x5a, v62
	v_mad_legacy_u16 v64, v64, s4, v65
	v_add_lshl_u32 v141, v62, v63, 3
	v_lshlrev_b32_e32 v140, 3, v64
	s_mov_b32 s2, 0x3f5db3d7
	s_waitcnt lgkmcnt(0)
	s_barrier
	s_waitcnt vmcnt(3)
	v_pk_mul_f32 v[62:63], v[46:47], v[24:25] op_sel:[0,1]
	v_mov_b32_e32 v64, v27
	v_pk_fma_f32 v[72:73], v[46:47], v[24:25], v[62:63] op_sel:[0,0,1] op_sel_hi:[1,1,0] neg_lo:[0,0,1] neg_hi:[0,0,1]
	v_pk_fma_f32 v[46:47], v[46:47], v[24:25], v[62:63] op_sel:[0,0,1] op_sel_hi:[1,0,0]
	v_pk_mul_f32 v[62:63], v[36:37], v[64:65] op_sel_hi:[1,0]
	v_mov_b32_e32 v73, v47
	v_pk_fma_f32 v[46:47], v[36:37], v[26:27], v[62:63] op_sel:[0,0,1] op_sel_hi:[1,1,0] neg_lo:[0,0,1] neg_hi:[0,0,1]
	v_pk_fma_f32 v[36:37], v[36:37], v[26:27], v[62:63] op_sel:[0,0,1] op_sel_hi:[1,0,0]
	s_waitcnt vmcnt(1)
	v_pk_mul_f32 v[68:69], v[42:43], v[28:29] op_sel:[0,1]
	v_mov_b32_e32 v70, v31
	v_pk_fma_f32 v[64:65], v[42:43], v[28:29], v[68:69] op_sel:[0,0,1] op_sel_hi:[1,0,0]
	v_pk_fma_f32 v[42:43], v[42:43], v[28:29], v[68:69] op_sel:[0,0,1] op_sel_hi:[1,0,0] neg_lo:[0,0,1] neg_hi:[0,0,1]
	v_pk_mul_f32 v[68:69], v[58:59], v[70:71] op_sel_hi:[1,0]
	s_waitcnt vmcnt(0)
	v_pk_mul_f32 v[70:71], v[54:55], v[16:17] op_sel:[1,0]
	v_pk_mul_f32 v[74:75], v[56:57], v[18:19] op_sel:[1,0]
	v_mov_b32_e32 v43, v65
	v_pk_fma_f32 v[62:63], v[58:59], v[30:31], v[68:69] op_sel:[0,0,1] op_sel_hi:[1,0,0]
	v_pk_fma_f32 v[58:59], v[58:59], v[30:31], v[68:69] op_sel:[0,0,1] op_sel_hi:[1,0,0] neg_lo:[0,0,1] neg_hi:[0,0,1]
	v_pk_fma_f32 v[64:65], v[56:57], v[16:17], v[70:71] op_sel:[0,0,1] op_sel_hi:[1,1,0] neg_lo:[0,0,1] neg_hi:[0,0,1]
	v_pk_fma_f32 v[56:57], v[56:57], v[16:17], v[70:71] op_sel:[0,0,1] op_sel_hi:[0,1,0]
	v_mov_b32_e32 v47, v37
	v_pk_add_f32 v[36:37], v[32:33], v[72:73]
	v_pk_fma_f32 v[68:69], v[54:55], v[18:19], v[74:75] op_sel:[0,0,1] op_sel_hi:[1,1,0] neg_lo:[0,0,1] neg_hi:[0,0,1]
	v_pk_fma_f32 v[54:55], v[54:55], v[18:19], v[74:75] op_sel:[0,0,1] op_sel_hi:[0,1,0]
	v_mov_b32_e32 v59, v63
	v_pk_add_f32 v[62:63], v[44:45], v[42:43]
	v_mov_b32_e32 v65, v57
	v_pk_add_f32 v[36:37], v[36:37], v[46:47]
	v_pk_add_f32 v[56:57], v[72:73], v[46:47]
	v_pk_add_f32 v[46:47], v[72:73], v[46:47] neg_lo:[0,1] neg_hi:[0,1]
	v_mov_b32_e32 v69, v55
	v_pk_add_f32 v[54:55], v[62:63], v[58:59]
	v_pk_add_f32 v[62:63], v[42:43], v[58:59]
	v_pk_fma_f32 v[32:33], v[56:57], 0.5, v[32:33] op_sel_hi:[1,0,1] neg_lo:[1,0,0] neg_hi:[1,0,0]
	v_pk_mul_f32 v[46:47], v[46:47], s[2:3] op_sel_hi:[1,0]
	v_pk_add_f32 v[42:43], v[42:43], v[58:59] neg_lo:[0,1] neg_hi:[0,1]
	v_pk_add_f32 v[58:59], v[52:53], v[64:65]
	v_pk_fma_f32 v[44:45], v[62:63], 0.5, v[44:45] op_sel_hi:[1,0,1] neg_lo:[1,0,0] neg_hi:[1,0,0]
	v_pk_add_f32 v[62:63], v[32:33], v[46:47] op_sel:[0,1] op_sel_hi:[1,0]
	v_pk_add_f32 v[32:33], v[32:33], v[46:47] op_sel:[0,1] op_sel_hi:[1,0] neg_lo:[0,1] neg_hi:[0,1]
	v_pk_mul_f32 v[66:67], v[40:41], v[20:21] op_sel:[0,1]
	v_pk_add_f32 v[72:73], v[64:65], v[68:69]
	v_pk_add_f32 v[64:65], v[64:65], v[68:69] neg_lo:[0,1] neg_hi:[0,1]
	v_pk_mul_f32 v[56:57], v[42:43], s[2:3] op_sel_hi:[1,0]
	v_pk_add_f32 v[70:71], v[58:59], v[68:69]
	v_pk_fma_f32 v[68:69], v[42:43], s[2:3], v[44:45] op_sel:[0,0,1] op_sel_hi:[1,0,0] neg_lo:[1,0,0] neg_hi:[1,0,0]
	v_mov_b32_e32 v42, v62
	v_mov_b32_e32 v43, v33
	;; [unrolled: 1-line block ×3, first 2 shown]
	ds_write2_b64 v141, v[36:37], v[42:43] offset1:30
	ds_write_b64 v141, v[32:33] offset:480
	v_pk_fma_f32 v[36:37], v[40:41], v[20:21], v[66:67] op_sel:[0,0,1] op_sel_hi:[1,0,0]
	v_pk_fma_f32 v[32:33], v[40:41], v[20:21], v[66:67] op_sel:[0,0,1] op_sel_hi:[1,1,0] neg_lo:[0,0,1] neg_hi:[0,0,1]
	v_mov_b32_e32 v36, v23
	v_mov_b32_e32 v33, v37
	v_pk_mul_f32 v[36:37], v[38:39], v[36:37] op_sel_hi:[1,0]
	v_pk_fma_f32 v[52:53], v[72:73], 0.5, v[52:53] op_sel_hi:[1,0,1] neg_lo:[1,0,0] neg_hi:[1,0,0]
	v_pk_fma_f32 v[40:41], v[38:39], v[22:23], v[36:37] op_sel:[0,0,1] op_sel_hi:[1,1,0] neg_lo:[0,0,1] neg_hi:[0,0,1]
	v_pk_fma_f32 v[36:37], v[38:39], v[22:23], v[36:37] op_sel:[0,0,1] op_sel_hi:[1,0,0]
	v_pk_add_f32 v[72:73], v[56:57], v[44:45] op_sel:[1,0] op_sel_hi:[0,1]
	v_mov_b32_e32 v41, v37
	v_pk_add_f32 v[36:37], v[32:33], v[40:41]
	v_pk_add_f32 v[38:39], v[32:33], v[40:41] neg_lo:[0,1] neg_hi:[0,1]
	v_pk_fma_f32 v[36:37], v[36:37], 0.5, v[34:35] op_sel_hi:[1,0,1] neg_lo:[1,0,0] neg_hi:[1,0,0]
	v_pk_mul_f32 v[38:39], v[38:39], s[2:3] op_sel_hi:[1,0]
	v_pk_add_f32 v[32:33], v[34:35], v[32:33]
	v_pk_add_f32 v[42:43], v[36:37], v[38:39] op_sel:[0,1] op_sel_hi:[1,0] neg_lo:[0,1] neg_hi:[0,1]
	v_pk_add_f32 v[36:37], v[36:37], v[38:39] op_sel:[0,1] op_sel_hi:[1,0]
	v_pk_add_f32 v[32:33], v[32:33], v[40:41]
	v_mov_b32_e32 v34, v36
	v_mov_b32_e32 v35, v43
	ds_write2_b64 v140, v[32:33], v[34:35] offset1:30
	v_mad_legacy_u16 v32, v78, s4, v79
	v_pk_mul_f32 v[58:59], v[64:65], s[2:3] op_sel_hi:[1,0]
	v_mov_b32_e32 v43, v37
	v_lshlrev_b32_e32 v142, 3, v32
	v_mov_b32_e32 v32, v72
	v_mov_b32_e32 v33, v68
	v_pk_add_f32 v[74:75], v[52:53], v[58:59] op_sel:[0,1] op_sel_hi:[1,0] neg_lo:[0,1] neg_hi:[0,1]
	v_pk_add_f32 v[76:77], v[58:59], v[52:53] op_sel:[1,0] op_sel_hi:[0,1]
	ds_write_b64 v140, v[42:43] offset:480
	ds_write2_b64 v142, v[54:55], v[32:33] offset1:30
	v_mov_b32_e32 v32, v69
	v_mov_b32_e32 v33, v73
	ds_write_b64 v142, v[32:33] offset:480
	s_and_saveexec_b64 s[2:3], vcc
	s_cbranch_execz .LBB0_9
; %bb.8:
	v_mad_legacy_u16 v32, v119, s4, v134
	v_lshlrev_b32_e32 v34, 3, v32
	v_mov_b32_e32 v32, v76
	v_mov_b32_e32 v33, v75
	ds_write2_b64 v34, v[70:71], v[32:33] offset1:30
	v_mov_b32_e32 v32, v74
	v_mov_b32_e32 v33, v77
	ds_write_b64 v34, v[32:33] offset:480
.LBB0_9:
	s_or_b64 exec, exec, s[2:3]
	s_waitcnt lgkmcnt(0)
	s_barrier
	ds_read_b64 v[52:53], v82
	ds_read_b64 v[66:67], v82 offset:2160
	ds_read_b64 v[64:65], v82 offset:4320
	;; [unrolled: 1-line block ×5, first 2 shown]
	s_movk_i32 s2, 0x6c
	s_movk_i32 s4, 0x6b
	v_cmp_gt_u16_e64 s[2:3], s2, v84
	v_cmp_lt_u16_e64 s[4:5], s4, v84
	s_and_saveexec_b64 s[6:7], s[4:5]
	s_xor_b64 s[6:7], exec, s[6:7]
	s_andn2_saveexec_b64 s[6:7], s[6:7]
	s_cbranch_execz .LBB0_11
; %bb.10:
	ds_read_b64 v[54:55], v82 offset:1296
	ds_read_b64 v[32:33], v82 offset:3456
	;; [unrolled: 1-line block ×6, first 2 shown]
	s_waitcnt lgkmcnt(4)
	v_mov_b32_e32 v72, v32
	s_waitcnt lgkmcnt(3)
	v_mov_b32_e32 v73, v35
	v_mov_b32_e32 v68, v33
	;; [unrolled: 1-line block ×3, first 2 shown]
	s_waitcnt lgkmcnt(1)
	v_mov_b32_e32 v76, v36
	s_waitcnt lgkmcnt(0)
	v_mov_b32_e32 v77, v75
	v_mov_b32_e32 v75, v37
.LBB0_11:
	s_or_b64 exec, exec, s[6:7]
	s_movk_i32 s6, 0x2d83
	v_mul_u32_u24_sdwa v32, v50, s6 dst_sel:DWORD dst_unused:UNUSED_PAD src0_sel:WORD_0 src1_sel:DWORD
	v_lshrrev_b32_e32 v136, 20, v32
	v_mul_lo_u16_e32 v32, 0x5a, v136
	v_sub_u16_e32 v137, v50, v32
	v_mul_lo_u16_e32 v32, 40, v137
	v_mov_b32_e32 v33, 0
	v_lshl_add_u64 v[40:41], s[14:15], 0, v[32:33]
	global_load_dwordx4 v[36:39], v[40:41], off offset:640
	global_load_dwordx4 v[32:35], v[40:41], off offset:656
	global_load_dwordx2 v[108:109], v[40:41], off offset:672
	s_movk_i32 s6, 0x5a
	v_add_u32_e32 v40, 0xffffffa6, v84
	v_cmp_gt_u16_e64 s[6:7], s6, v84
	v_mov_b32_e32 v79, v72
	v_mov_b32_e32 v78, v69
	v_cndmask_b32_e64 v143, v40, v84, s[6:7]
	v_mul_hi_i32_i24_e32 v41, 40, v143
	v_mul_i32_i24_e32 v40, 40, v143
	v_lshl_add_u64 v[120:121], s[14:15], 0, v[40:41]
	global_load_dwordx2 v[110:111], v[120:121], off offset:672
	global_load_dwordx4 v[40:43], v[120:121], off offset:656
	global_load_dwordx4 v[44:47], v[120:121], off offset:640
	v_mov_b32_e32 v80, v71
	v_mov_b32_e32 v112, v75
	;; [unrolled: 1-line block ×5, first 2 shown]
	s_mov_b32 s20, 0.5
	s_mov_b32 s18, 0x3f5db3d7
	s_mov_b32 s21, 0xbf5db3d7
	s_movk_i32 s6, 0x59
	v_cmp_lt_u16_e64 s[6:7], s6, v84
	s_waitcnt lgkmcnt(0)
	s_barrier
	s_waitcnt vmcnt(5)
	v_pk_mul_f32 v[120:121], v[78:79], v[36:37]
	v_pk_mul_f32 v[122:123], v[72:73], v[38:39]
	s_waitcnt vmcnt(4)
	v_pk_mul_f32 v[124:125], v[70:71], v[32:33]
	v_mov_b32_e32 v118, v33
	v_pk_mul_f32 v[126:127], v[74:75], v[34:35]
	v_mov_b32_e32 v120, v35
	s_waitcnt vmcnt(3)
	v_pk_mul_f32 v[128:129], v[76:77], v[108:109]
	v_mov_b32_e32 v122, v109
	v_mov_b32_e32 v132, v37
	;; [unrolled: 1-line block ×5, first 2 shown]
	v_pk_mul_f32 v[144:145], v[70:71], v[118:119]
	v_mov_b32_e32 v118, v127
	v_pk_mul_f32 v[146:147], v[76:77], v[120:121]
	v_mov_b32_e32 v120, v129
	v_mov_b32_e32 v130, v36
	;; [unrolled: 1-line block ×3, first 2 shown]
	v_pk_mul_f32 v[122:123], v[74:75], v[122:123]
	v_pk_mul_f32 v[128:129], v[68:69], v[132:133]
	v_pk_fma_f32 v[78:79], v[78:79], v[38:39], v[124:125] neg_lo:[0,0,1] neg_hi:[0,0,1]
	v_pk_fma_f32 v[124:125], v[70:71], v[32:33], v[126:127] neg_lo:[0,0,1] neg_hi:[0,0,1]
	v_pk_fma_f32 v[76:77], v[76:77], v[34:35], v[118:119] neg_lo:[0,0,1] neg_hi:[0,0,1]
	v_pk_fma_f32 v[74:75], v[74:75], v[108:109], v[120:121] neg_lo:[0,0,1] neg_hi:[0,0,1]
	v_pk_fma_f32 v[70:71], v[80:81], v[32:33], v[144:145]
	v_pk_fma_f32 v[114:115], v[114:115], v[108:109], v[122:123]
	v_pk_fma_f32 v[122:123], v[72:73], v[130:131], v[128:129] neg_lo:[0,0,1] neg_hi:[0,0,1]
	v_pk_fma_f32 v[126:127], v[72:73], v[130:131], v[128:129]
	v_pk_add_f32 v[72:73], v[54:55], v[78:79]
	v_add_f32_e32 v80, v78, v76
	v_pk_add_f32 v[78:79], v[78:79], v[76:77] neg_lo:[0,1] neg_hi:[0,1]
	v_add_f32_e32 v118, v124, v74
	v_pk_fma_f32 v[112:113], v[112:113], v[34:35], v[146:147]
	v_pk_add_f32 v[128:129], v[70:71], v[114:115] neg_lo:[0,1] neg_hi:[0,1]
	v_add_f32_e32 v115, v70, v114
	v_mov_b32_e32 v79, v70
	v_pk_add_f32 v[70:71], v[72:73], v[76:77]
	v_mul_f32_e32 v72, 0.5, v118
	v_mov_b32_e32 v117, v36
	v_mov_b32_e32 v69, v112
	;; [unrolled: 1-line block ×3, first 2 shown]
	v_pk_add_f32 v[72:73], v[122:123], v[72:73] neg_lo:[0,1] neg_hi:[0,1]
	v_pk_add_f32 v[68:69], v[126:127], v[68:69]
	v_pk_mul_f32 v[148:149], v[128:129], v[116:117]
	v_mov_b32_e32 v120, v72
	v_sub_f32_e32 v150, v124, v74
	v_mov_b32_e32 v73, v69
	v_mov_b32_e32 v149, 0.5
	v_pk_fma_f32 v[116:117], v[128:129], v[116:117], v[120:121]
	v_mov_b32_e32 v132, v127
	v_mov_b32_e32 v144, v112
	v_mul_f32_e32 v76, 0.5, v80
	v_mul_f32_e32 v145, 0x3f5db3d7, v150
	v_pk_add_f32 v[120:121], v[72:73], v[148:149] neg_lo:[0,1] neg_hi:[0,1]
	v_mov_b32_e32 v80, v149
	v_fma_f32 v133, -0.5, v115, v117
	v_mov_b32_e32 v130, v122
	v_pk_fma_f32 v[122:123], v[72:73], v[148:149], v[54:55] neg_lo:[1,0,0] neg_hi:[1,0,0]
	v_pk_mul_f32 v[80:81], v[80:81], v[120:121]
	v_pk_add_f32 v[144:145], v[132:133], v[144:145]
	v_mov_b32_e32 v131, v127
	v_mov_b32_e32 v147, v78
	;; [unrolled: 1-line block ×5, first 2 shown]
	v_pk_add_f32 v[124:125], v[130:131], v[124:125]
	v_pk_add_f32 v[128:129], v[132:133], v[112:113] neg_lo:[0,1] neg_hi:[0,1]
	v_pk_fma_f32 v[68:69], v[146:147], s[18:19], v[68:69] op_sel_hi:[1,0,1] neg_lo:[1,0,0] neg_hi:[1,0,0]
	v_mov_b32_e32 v77, v127
	s_mov_b32 s19, s20
	v_pk_add_f32 v[72:73], v[124:125], v[74:75]
	v_pk_add_f32 v[74:75], v[54:55], v[126:127]
	v_pk_add_f32 v[124:125], v[54:55], v[76:77] neg_lo:[0,1] neg_hi:[0,1]
	v_pk_mul_f32 v[54:55], v[128:129], s[18:19]
	v_mov_b32_e32 v125, v75
	v_mov_b32_e32 v55, v112
	v_pk_add_f32 v[74:75], v[116:117], v[78:79]
	v_pk_mul_f32 v[76:77], v[116:117], s[20:21]
	s_waitcnt vmcnt(0)
	v_pk_mul_f32 v[112:113], v[66:67], v[44:45] op_sel:[0,1]
	v_mov_b32_e32 v77, v75
	v_mov_b32_e32 v75, v114
	v_pk_fma_f32 v[114:115], v[66:67], v[44:45], v[112:113] op_sel:[0,0,1] op_sel_hi:[1,1,0] neg_lo:[0,0,1] neg_hi:[0,0,1]
	v_pk_fma_f32 v[66:67], v[66:67], v[44:45], v[112:113] op_sel:[0,0,1] op_sel_hi:[1,0,0]
	v_pk_fma_f32 v[78:79], v[146:147], s[18:19], v[122:123] op_sel_hi:[1,0,1]
	v_mov_b32_e32 v66, v47
	v_mov_b32_e32 v115, v67
	v_pk_mul_f32 v[66:67], v[64:65], v[66:67] op_sel_hi:[1,0]
	v_mov_b32_e32 v71, 0x21c
	v_pk_fma_f32 v[112:113], v[64:65], v[46:47], v[66:67] op_sel:[0,0,1] op_sel_hi:[1,1,0] neg_lo:[0,0,1] neg_hi:[0,0,1]
	v_pk_fma_f32 v[64:65], v[64:65], v[46:47], v[66:67] op_sel:[0,0,1] op_sel_hi:[1,0,0]
	v_fmac_f32_e32 v133, 0xbf5db3d7, v150
	v_mov_b32_e32 v113, v65
	v_pk_mul_f32 v[64:65], v[62:63], v[40:41] op_sel:[0,1]
	v_cndmask_b32_e64 v71, 0, v71, s[6:7]
	v_pk_fma_f32 v[66:67], v[62:63], v[40:41], v[64:65] op_sel:[0,0,1] op_sel_hi:[1,1,0] neg_lo:[0,0,1] neg_hi:[0,0,1]
	v_pk_fma_f32 v[62:63], v[62:63], v[40:41], v[64:65] op_sel:[0,0,1] op_sel_hi:[1,0,0]
	v_mov_b32_e32 v144, v128
	v_mov_b32_e32 v62, v43
	;; [unrolled: 1-line block ×3, first 2 shown]
	v_pk_mul_f32 v[62:63], v[58:59], v[62:63] op_sel_hi:[1,0]
	v_pk_add_f32 v[54:55], v[124:125], v[54:55]
	v_pk_fma_f32 v[64:65], v[58:59], v[42:43], v[62:63] op_sel:[0,0,1] op_sel_hi:[1,1,0] neg_lo:[0,0,1] neg_hi:[0,0,1]
	v_pk_fma_f32 v[58:59], v[58:59], v[42:43], v[62:63] op_sel:[0,0,1] op_sel_hi:[1,0,0]
	v_mul_f32_e32 v74, 0x3f5db3d7, v133
	v_mov_b32_e32 v65, v59
	v_pk_mul_f32 v[58:59], v[56:57], v[110:111] op_sel:[0,1]
	v_pk_add_f32 v[122:123], v[112:113], v[64:65]
	v_pk_fma_f32 v[62:63], v[56:57], v[110:111], v[58:59] op_sel:[0,0,1] op_sel_hi:[1,1,0] neg_lo:[0,0,1] neg_hi:[0,0,1]
	v_pk_fma_f32 v[56:57], v[56:57], v[110:111], v[58:59] op_sel:[0,0,1] op_sel_hi:[1,0,0]
	v_pk_add_f32 v[58:59], v[114:115], v[66:67]
	v_mov_b32_e32 v63, v57
	v_pk_add_f32 v[56:57], v[52:53], v[112:113]
	v_pk_fma_f32 v[52:53], v[122:123], 0.5, v[52:53] op_sel_hi:[1,0,1] neg_lo:[1,0,0] neg_hi:[1,0,0]
	v_pk_add_f32 v[122:123], v[66:67], v[62:63]
	v_pk_add_f32 v[56:57], v[56:57], v[64:65]
	;; [unrolled: 1-line block ×3, first 2 shown]
	v_pk_add_f32 v[64:65], v[112:113], v[64:65] neg_lo:[0,1] neg_hi:[0,1]
	v_pk_fma_f32 v[114:115], v[122:123], 0.5, v[114:115] op_sel_hi:[1,0,1] neg_lo:[1,0,0] neg_hi:[1,0,0]
	v_pk_add_f32 v[62:63], v[66:67], v[62:63] neg_lo:[0,1] neg_hi:[0,1]
	v_pk_mul_f32 v[64:65], v[64:65], s[18:19] op_sel_hi:[1,0]
	v_pk_fma_f32 v[66:67], v[62:63], s[18:19], v[114:115] op_sel:[0,0,1] op_sel_hi:[1,0,0]
	v_pk_fma_f32 v[62:63], v[62:63], s[18:19], v[114:115] op_sel:[0,0,1] op_sel_hi:[1,0,0] neg_lo:[1,0,0] neg_hi:[1,0,0]
	v_mul_f32_e32 v125, 0xbf5db3d7, v120
	v_add_lshl_u32 v143, v143, v71, 3
	v_pk_add_f32 v[112:113], v[64:65], v[52:53] op_sel:[1,0] op_sel_hi:[0,1]
	v_pk_add_f32 v[52:53], v[52:53], v[64:65] op_sel:[0,1] op_sel_hi:[1,0] neg_lo:[0,1] neg_hi:[0,1]
	v_mov_b32_e32 v114, v66
	v_mov_b32_e32 v115, v63
	v_mul_f32_e32 v71, 0xbf5db3d7, v67
	v_pk_add_f32 v[74:75], v[76:77], v[74:75]
	v_pk_fma_f32 v[76:77], v[146:147], s[18:19], v[80:81] op_sel_hi:[1,0,1] neg_lo:[0,0,1] neg_hi:[0,0,1]
	v_mul_f32_e32 v68, 0xbf5db3d7, v116
	v_pk_fma_f32 v[116:117], v[144:145], s[18:19], v[124:125] neg_lo:[1,0,0] neg_hi:[1,0,0]
	v_mov_b32_e32 v64, v52
	v_mul_f32_e32 v52, 0x3f5db3d7, v62
	v_fmac_f32_e32 v71, 0.5, v62
	s_mov_b32 s19, s21
	v_pk_mul_f32 v[62:63], v[114:115], 0.5 op_sel_hi:[1,0]
	v_mov_b32_e32 v65, v113
	v_pk_fma_f32 v[62:63], v[114:115], s[18:19], v[62:63] op_sel:[0,0,1] op_sel_hi:[1,1,0] neg_lo:[0,0,1] neg_hi:[0,0,1]
	v_pk_add_f32 v[120:121], v[56:57], v[58:59]
	v_fmac_f32_e32 v52, 0.5, v67
	v_pk_add_f32 v[114:115], v[64:65], v[62:63]
	v_pk_add_f32 v[56:57], v[56:57], v[58:59] neg_lo:[0,1] neg_hi:[0,1]
	v_add_u32_e32 v58, 0x400, v143
	v_fmac_f32_e32 v68, 0.5, v133
	v_pk_add_f32 v[80:81], v[54:55], v[74:75] neg_lo:[0,1] neg_hi:[0,1]
	v_add_f32_e32 v66, v112, v52
	v_add_f32_e32 v67, v53, v71
	v_sub_f32_e32 v52, v112, v52
	v_sub_f32_e32 v53, v53, v71
	ds_write2_b64 v58, v[114:115], v[56:57] offset0:52 offset1:142
	v_pk_add_f32 v[56:57], v[64:65], v[62:63] neg_lo:[0,1] neg_hi:[0,1]
	v_add_u32_e32 v58, 0x800, v143
	ds_write2_b64 v143, v[120:121], v[66:67] offset1:90
	ds_write2_b64 v58, v[52:53], v[56:57] offset0:104 offset1:194
	s_and_saveexec_b64 s[6:7], s[4:5]
	s_xor_b64 s[6:7], exec, s[6:7]
; %bb.12:
                                        ; implicit-def: $vgpr54_vgpr55
                                        ; implicit-def: $vgpr74_vgpr75
; %bb.13:
	s_or_saveexec_b64 s[6:7], s[6:7]
	v_sub_f32_e32 v120, v70, v72
	v_sub_f32_e32 v112, v116, v76
	;; [unrolled: 1-line block ×4, first 2 shown]
	s_xor_b64 exec, exec, s[6:7]
	s_cbranch_execz .LBB0_15
; %bb.14:
	s_movk_i32 s18, 0x2d83
	v_mul_u32_u24_sdwa v56, v50, s18 dst_sel:DWORD dst_unused:UNUSED_PAD src0_sel:WORD_0 src1_sel:DWORD
	v_lshrrev_b32_e32 v56, 20, v56
	s_movk_i32 s18, 0x21c
	v_mad_legacy_u16 v56, v56, s18, v137
	v_mov_b32_e32 v71, v55
	v_mov_b32_e32 v73, v75
	;; [unrolled: 1-line block ×5, first 2 shown]
	v_lshlrev_b32_e32 v58, 3, v56
	v_pk_add_f32 v[56:57], v[70:71], v[72:73]
	v_pk_add_f32 v[54:55], v[54:55], v[74:75]
	v_pk_add_f32 v[52:53], v[116:117], v[76:77]
	ds_write2_b64 v58, v[56:57], v[54:55] offset1:90
	v_mov_b32_e32 v121, v81
	v_add_u32_e32 v54, 0x400, v58
	ds_write2_b64 v54, v[52:53], v[120:121] offset0:52 offset1:142
	v_mov_b32_e32 v114, v80
	v_add_u32_e32 v52, 0x800, v58
	ds_write2_b64 v52, v[114:115], v[112:113] offset0:104 offset1:194
.LBB0_15:
	s_or_b64 exec, exec, s[6:7]
	v_add_u32_e32 v52, 0xa00, v82
	s_waitcnt lgkmcnt(0)
	s_barrier
	ds_read2_b64 v[64:67], v52 offset0:4 offset1:220
	v_add_u32_e32 v52, 0x2000, v82
	ds_read2_b64 v[76:79], v52 offset0:56 offset1:218
	v_add_u32_e32 v52, 0x1400, v82
	ds_read2_b64 v[72:75], v82 offset1:162
	ds_read2_b64 v[68:71], v52 offset0:62 offset1:224
	ds_read_b64 v[122:123], v82 offset:11232
	s_and_saveexec_b64 s[6:7], s[0:1]
	s_xor_b64 s[6:7], exec, s[6:7]
	s_andn2_saveexec_b64 s[6:7], s[6:7]
	s_cbranch_execz .LBB0_17
; %bb.16:
	ds_read_b64 v[80:81], v82 offset:8208
	ds_read_b64 v[120:121], v82 offset:3888
	;; [unrolled: 1-line block ×3, first 2 shown]
	s_waitcnt lgkmcnt(2)
	v_mov_b32_e32 v115, v81
	s_waitcnt lgkmcnt(1)
	v_mov_b32_e32 v81, v121
.LBB0_17:
	s_or_b64 exec, exec, s[6:7]
	v_lshlrev_b32_e32 v124, 4, v84
	v_mov_b32_e32 v125, 0
	v_lshl_add_u64 v[52:53], s[14:15], 0, v[124:125]
	s_movk_i32 s18, 0x1000
	v_add_co_u32_e64 v52, s[6:7], s18, v52
	v_lshl_add_u64 v[50:51], v[50:51], 4, s[14:15]
	s_nop 0
	v_addc_co_u32_e64 v53, s[6:7], 0, v53, s[6:7]
	v_add_co_u32_e64 v50, s[6:7], s18, v50
	v_lshl_add_u64 v[60:61], v[60:61], 4, s[14:15]
	s_nop 0
	v_addc_co_u32_e64 v51, s[6:7], 0, v51, s[6:7]
	s_movk_i32 s6, 0xffca
	s_mov_b32 s7, -1
	global_load_dwordx4 v[52:55], v[52:53], off offset:144
	s_nop 0
	global_load_dwordx4 v[56:59], v[50:51], off offset:144
	v_lshl_add_u64 v[50:51], v[84:85], 0, s[6:7]
	v_cndmask_b32_e32 v49, v51, v49, vcc
	v_cndmask_b32_e32 v48, v50, v48, vcc
	v_lshl_add_u64 v[48:49], v[48:49], 4, s[14:15]
	v_add_co_u32_e64 v48, s[6:7], s18, v48
	s_waitcnt vmcnt(1) lgkmcnt(4)
	v_pk_mul_f32 v[116:117], v[66:67], v[52:53] op_sel:[0,1]
	v_addc_co_u32_e64 v49, s[6:7], 0, v49, s[6:7]
	global_load_dwordx4 v[48:51], v[48:49], off offset:144
	v_add_co_u32_e64 v60, s[6:7], s18, v60
	v_mov_b32_e32 v114, v55
	s_nop 0
	v_addc_co_u32_e64 v61, s[6:7], 0, v61, s[6:7]
	global_load_dwordx4 v[60:63], v[60:61], off offset:144
	s_waitcnt vmcnt(2) lgkmcnt(1)
	v_pk_mul_f32 v[126:127], v[68:69], v[56:57] op_sel:[0,1]
	v_mov_b32_e32 v118, v59
	v_pk_fma_f32 v[128:129], v[66:67], v[52:53], v[116:117] op_sel:[0,0,1] op_sel_hi:[1,1,0] neg_lo:[0,0,1] neg_hi:[0,0,1]
	v_pk_fma_f32 v[116:117], v[66:67], v[52:53], v[116:117] op_sel:[0,0,1] op_sel_hi:[1,0,0]
	v_pk_mul_f32 v[130:131], v[76:77], v[114:115] op_sel_hi:[1,0]
	v_pk_fma_f32 v[132:133], v[68:69], v[56:57], v[126:127] op_sel:[0,0,1] op_sel_hi:[1,1,0] neg_lo:[0,0,1] neg_hi:[0,0,1]
	v_pk_fma_f32 v[68:69], v[68:69], v[56:57], v[126:127] op_sel:[0,0,1] op_sel_hi:[1,0,0]
	v_pk_mul_f32 v[126:127], v[78:79], v[118:119] op_sel_hi:[1,0]
	v_mov_b32_e32 v129, v117
	v_pk_fma_f32 v[116:117], v[76:77], v[54:55], v[130:131] op_sel:[0,0,1] op_sel_hi:[1,1,0] neg_lo:[0,0,1] neg_hi:[0,0,1]
	v_pk_fma_f32 v[76:77], v[76:77], v[54:55], v[130:131] op_sel:[0,0,1] op_sel_hi:[1,0,0]
	v_mov_b32_e32 v133, v69
	v_pk_fma_f32 v[130:131], v[78:79], v[58:59], v[126:127] op_sel:[0,0,1] op_sel_hi:[1,1,0] neg_lo:[0,0,1] neg_hi:[0,0,1]
	v_pk_fma_f32 v[78:79], v[78:79], v[58:59], v[126:127] op_sel:[0,0,1] op_sel_hi:[1,0,0]
	v_mov_b32_e32 v117, v77
	s_mov_b32 s6, 0x3f5db3d7
	v_mov_b32_e32 v131, v79
	v_pk_add_f32 v[78:79], v[74:75], v[132:133]
	v_pk_add_f32 v[126:127], v[128:129], v[116:117] neg_lo:[0,1] neg_hi:[0,1]
	v_pk_add_f32 v[76:77], v[72:73], v[128:129]
	v_pk_add_f32 v[78:79], v[78:79], v[130:131]
	v_pk_mul_f32 v[126:127], v[126:127], s[6:7] op_sel_hi:[1,0]
	v_pk_add_f32 v[76:77], v[76:77], v[116:117]
	s_waitcnt vmcnt(1)
	v_mul_f32_e32 v68, v80, v48
	v_mul_f32_e32 v66, v80, v49
	v_fma_f32 v68, -v115, v49, v68
	v_fmac_f32_e32 v66, v115, v48
	v_pk_add_f32 v[114:115], v[128:129], v[116:117]
	v_pk_add_f32 v[128:129], v[132:133], v[130:131]
	v_pk_add_f32 v[130:131], v[132:133], v[130:131] neg_lo:[0,1] neg_hi:[0,1]
	v_pk_fma_f32 v[72:73], v[114:115], 0.5, v[72:73] op_sel_hi:[1,0,1] neg_lo:[1,0,0] neg_hi:[1,0,0]
	v_pk_fma_f32 v[74:75], v[128:129], 0.5, v[74:75] op_sel_hi:[1,0,1] neg_lo:[1,0,0] neg_hi:[1,0,0]
	v_pk_mul_f32 v[128:129], v[130:131], s[6:7] op_sel_hi:[1,0]
	v_pk_add_f32 v[130:131], v[72:73], v[126:127] op_sel:[0,1] op_sel_hi:[1,0]
	v_pk_add_f32 v[72:73], v[72:73], v[126:127] op_sel:[0,1] op_sel_hi:[1,0] neg_lo:[0,1] neg_hi:[0,1]
	v_pk_add_f32 v[126:127], v[74:75], v[128:129] op_sel:[0,1] op_sel_hi:[1,0]
	v_pk_add_f32 v[74:75], v[74:75], v[128:129] op_sel:[0,1] op_sel_hi:[1,0] neg_lo:[0,1] neg_hi:[0,1]
	v_mov_b32_e32 v128, v130
	v_mov_b32_e32 v129, v73
	;; [unrolled: 1-line block ×3, first 2 shown]
	ds_write_b64 v82, v[128:129] offset:4320
	ds_write_b64 v82, v[72:73] offset:8640
	ds_write2_b64 v82, v[76:77], v[78:79] offset1:162
	v_mov_b32_e32 v131, v75
	v_mov_b32_e32 v75, v127
	s_waitcnt vmcnt(0)
	v_pk_mul_f32 v[72:73], v[70:71], v[60:61] op_sel:[0,1]
	ds_write_b64 v82, v[74:75] offset:9936
	v_pk_fma_f32 v[74:75], v[70:71], v[60:61], v[72:73] op_sel:[0,0,1] op_sel_hi:[1,1,0] neg_lo:[0,0,1] neg_hi:[0,0,1]
	v_pk_fma_f32 v[70:71], v[70:71], v[60:61], v[72:73] op_sel:[0,0,1] op_sel_hi:[1,0,0]
	s_waitcnt lgkmcnt(4)
	v_mul_f32_e32 v80, v113, v51
	v_mov_b32_e32 v70, v63
	v_mov_b32_e32 v75, v71
	v_pk_mul_f32 v[70:71], v[122:123], v[70:71] op_sel_hi:[1,0]
	v_mul_f32_e32 v67, v112, v51
	v_pk_fma_f32 v[72:73], v[122:123], v[62:63], v[70:71] op_sel:[0,0,1] op_sel_hi:[1,1,0] neg_lo:[0,0,1] neg_hi:[0,0,1]
	v_pk_fma_f32 v[70:71], v[122:123], v[62:63], v[70:71] op_sel:[0,0,1] op_sel_hi:[1,0,0]
	v_fma_f32 v69, v112, v50, -v80
	v_mov_b32_e32 v73, v71
	v_pk_add_f32 v[70:71], v[64:65], v[74:75]
	v_fmac_f32_e32 v67, v113, v50
	v_pk_add_f32 v[70:71], v[70:71], v[72:73]
	ds_write_b64 v82, v[70:71] offset:2592
	v_pk_add_f32 v[70:71], v[74:75], v[72:73]
	v_add_f32_e32 v80, v68, v69
	v_pk_fma_f32 v[64:65], v[70:71], 0.5, v[64:65] op_sel_hi:[1,0,1] neg_lo:[1,0,0] neg_hi:[1,0,0]
	v_pk_add_f32 v[70:71], v[74:75], v[72:73] neg_lo:[0,1] neg_hi:[0,1]
	v_add_f32_e32 v113, v66, v67
	v_pk_mul_f32 v[70:71], v[70:71], s[6:7] op_sel_hi:[1,0]
	v_sub_f32_e32 v85, v66, v67
	v_sub_f32_e32 v121, v68, v69
	v_fma_f32 v112, -0.5, v80, v120
	v_fma_f32 v116, -0.5, v113, v81
	v_pk_add_f32 v[72:73], v[64:65], v[70:71] op_sel:[0,1] op_sel_hi:[1,0]
	v_pk_add_f32 v[64:65], v[64:65], v[70:71] op_sel:[0,1] op_sel_hi:[1,0] neg_lo:[0,1] neg_hi:[0,1]
	v_fmamk_f32 v114, v85, 0x3f5db3d7, v112
	v_fmac_f32_e32 v112, 0xbf5db3d7, v85
	v_fmamk_f32 v118, v121, 0xbf5db3d7, v116
	v_fmac_f32_e32 v116, 0x3f5db3d7, v121
	v_mov_b32_e32 v130, v126
	v_mov_b32_e32 v74, v72
	;; [unrolled: 1-line block ×3, first 2 shown]
	v_add_u32_e32 v70, 0x1400, v82
	v_mov_b32_e32 v65, v73
	ds_write2_b64 v70, v[130:131], v[74:75] offset0:62 offset1:224
	ds_write_b64 v82, v[64:65] offset:11232
	s_and_saveexec_b64 s[6:7], vcc
	s_cbranch_execz .LBB0_19
; %bb.18:
	v_add_f32_e32 v64, v81, v66
	v_add_f32_e32 v65, v64, v67
	;; [unrolled: 1-line block ×4, first 2 shown]
	v_mov_b32_e32 v115, v118
	v_mov_b32_e32 v113, v116
	ds_write_b64 v82, v[64:65] offset:3888
	ds_write_b64 v82, v[114:115] offset:8208
	;; [unrolled: 1-line block ×3, first 2 shown]
.LBB0_19:
	s_or_b64 exec, exec, s[6:7]
	v_lshlrev_b32_e32 v124, 3, v84
	v_lshl_add_u64 v[64:65], s[12:13], 0, v[124:125]
	s_movk_i32 s6, 0x3000
	v_add_co_u32_e64 v66, s[6:7], s6, v64
	s_mov_b64 s[12:13], 0x32a0
	s_nop 0
	v_addc_co_u32_e64 v67, s[6:7], 0, v65, s[6:7]
	s_waitcnt lgkmcnt(0)
	s_barrier
	global_load_dwordx2 v[68:69], v[66:67], off offset:672
	v_lshl_add_u64 v[66:67], v[64:65], 0, s[12:13]
	s_movk_i32 s6, 0x4000
	global_load_dwordx2 v[72:73], v[66:67], off offset:1296
	global_load_dwordx2 v[80:81], v[66:67], off offset:2592
	;; [unrolled: 1-line block ×3, first 2 shown]
	v_add_co_u32_e64 v66, s[6:7], s6, v64
	v_add_u32_e32 v71, 0x800, v82
	s_nop 0
	v_addc_co_u32_e64 v67, s[6:7], 0, v65, s[6:7]
	s_movk_i32 s6, 0x5000
	global_load_dwordx2 v[146:147], v[66:67], off offset:1760
	global_load_dwordx2 v[148:149], v[66:67], off offset:3056
	v_add_co_u32_e64 v66, s[6:7], s6, v64
	v_add_u32_e32 v85, 0x1c00, v82
	s_nop 0
	v_addc_co_u32_e64 v67, s[6:7], 0, v65, s[6:7]
	s_movk_i32 s6, 0x6000
	s_nop 0
	v_add_co_u32_e64 v64, s[6:7], s6, v64
	global_load_dwordx2 v[150:151], v[66:67], off offset:256
	global_load_dwordx2 v[152:153], v[66:67], off offset:1552
	v_addc_co_u32_e64 v65, s[6:7], 0, v65, s[6:7]
	global_load_dwordx2 v[154:155], v[66:67], off offset:2848
	global_load_dwordx2 v[156:157], v[64:65], off offset:48
	ds_read2_b64 v[64:67], v82 offset1:162
	v_add_u32_e32 v113, 0x2800, v82
	s_mov_b32 s12, 0x3f737871
	s_mov_b32 s14, 0x3f167918
	v_mov_b32_e32 v120, v12
	s_mov_b32 s6, 0x3e9e377a
	s_mov_b32 s18, 0x3f4f1bbd
	;; [unrolled: 1-line block ×3, first 2 shown]
	v_mov_b32_e32 v128, v4
	v_mov_b32_e32 v129, v4
	;; [unrolled: 1-line block ×12, first 2 shown]
	s_waitcnt vmcnt(9) lgkmcnt(0)
	v_mul_f32_e32 v74, v65, v69
	v_mul_f32_e32 v75, v64, v69
	s_waitcnt vmcnt(8)
	v_mul_f32_e32 v76, v67, v73
	v_mul_f32_e32 v69, v66, v73
	v_fma_f32 v74, v64, v68, -v74
	v_fmac_f32_e32 v75, v65, v68
	v_fma_f32 v68, v66, v72, -v76
	v_fmac_f32_e32 v69, v67, v72
	ds_write2_b64 v82, v[74:75], v[68:69] offset1:162
	ds_read2_b64 v[64:67], v71 offset0:68 offset1:230
	ds_read2_b64 v[72:75], v70 offset0:8 offset1:170
	;; [unrolled: 1-line block ×4, first 2 shown]
	s_waitcnt vmcnt(5) lgkmcnt(2)
	v_mul_f32_e32 v117, v73, v147
	v_mul_f32_e32 v68, v65, v81
	;; [unrolled: 1-line block ×6, first 2 shown]
	s_waitcnt vmcnt(4)
	v_mul_f32_e32 v121, v75, v149
	v_mul_f32_e32 v147, v74, v149
	v_fma_f32 v68, v64, v80, -v68
	v_fmac_f32_e32 v69, v65, v80
	v_fma_f32 v80, v66, v144, -v115
	v_fmac_f32_e32 v81, v67, v144
	s_waitcnt vmcnt(1) lgkmcnt(0)
	v_mul_f32_e32 v64, v131, v155
	v_mul_f32_e32 v65, v130, v155
	s_waitcnt vmcnt(0)
	v_mul_f32_e32 v66, v133, v157
	v_mul_f32_e32 v67, v132, v157
	;; [unrolled: 1-line block ×6, first 2 shown]
	v_fma_f32 v144, v72, v146, -v117
	v_fmac_f32_e32 v145, v73, v146
	v_fma_f32 v146, v74, v148, -v121
	v_fmac_f32_e32 v147, v75, v148
	;; [unrolled: 2-line block ×6, first 2 shown]
	ds_write2_b64 v71, v[68:69], v[80:81] offset0:68 offset1:230
	ds_write2_b64 v70, v[144:145], v[146:147] offset0:8 offset1:170
	ds_write2_b64 v85, v[148:149], v[150:151] offset0:76 offset1:238
	ds_write2_b64 v113, v[64:65], v[66:67] offset0:16 offset1:178
	s_waitcnt lgkmcnt(0)
	s_barrier
	ds_read2_b64 v[64:67], v82 offset1:162
	ds_read2_b64 v[72:75], v71 offset0:68 offset1:230
	ds_read2_b64 v[76:79], v70 offset0:8 offset1:170
	;; [unrolled: 1-line block ×4, first 2 shown]
	v_mov_b32_e32 v121, v12
	s_waitcnt lgkmcnt(3)
	v_mov_b32_e32 v152, v74
	s_waitcnt lgkmcnt(2)
	v_pk_add_f32 v[158:159], v[72:73], v[76:77] neg_lo:[0,1] neg_hi:[0,1]
	v_mov_b32_e32 v150, v78
	s_waitcnt lgkmcnt(0)
	v_pk_add_f32 v[160:161], v[144:145], v[130:131] neg_lo:[0,1] neg_hi:[0,1]
	v_pk_add_f32 v[148:149], v[74:75], v[146:147]
	v_mov_b32_e32 v151, v132
	v_mov_b32_e32 v153, v146
	v_pk_add_f32 v[158:159], v[158:159], v[160:161]
	v_pk_add_f32 v[160:161], v[78:79], v[132:133]
	v_fma_f32 v71, -0.5, v148, v66
	v_pk_add_f32 v[150:151], v[150:151], v[152:153] neg_lo:[0,1] neg_hi:[0,1]
	v_pk_add_f32 v[152:153], v[66:67], v[74:75]
	v_fma_f32 v85, -0.5, v149, v67
	v_pk_fma_f32 v[66:67], v[160:161], 0.5, v[66:67] op_sel_hi:[1,0,1] neg_lo:[1,0,0] neg_hi:[1,0,0]
	v_pk_add_f32 v[160:161], v[74:75], v[146:147] neg_lo:[0,1] neg_hi:[0,1]
	v_mov_b32_e32 v148, v79
	v_mov_b32_e32 v149, v133
	;; [unrolled: 1-line block ×4, first 2 shown]
	v_pk_mul_f32 v[162:163], v[160:161], s[12:13] op_sel_hi:[1,0]
	v_pk_add_f32 v[166:167], v[78:79], v[132:133] neg_lo:[0,1] neg_hi:[0,1]
	v_mov_b32_e32 v12, v151
	v_pk_add_f32 v[152:153], v[152:153], v[78:79]
	v_pk_add_f32 v[148:149], v[148:149], v[154:155] neg_lo:[0,1] neg_hi:[0,1]
	v_pk_add_f32 v[164:165], v[66:67], v[162:163] op_sel:[0,1] op_sel_hi:[1,0]
	v_pk_mul_f32 v[168:169], v[166:167], s[14:15] op_sel_hi:[1,0]
	v_pk_add_f32 v[74:75], v[74:75], v[78:79] neg_lo:[0,1] neg_hi:[0,1]
	v_pk_add_f32 v[78:79], v[146:147], v[132:133] neg_lo:[0,1] neg_hi:[0,1]
	v_pk_add_f32 v[66:67], v[66:67], v[162:163] op_sel:[0,1] op_sel_hi:[1,0] neg_lo:[0,1] neg_hi:[0,1]
	v_pk_add_f32 v[150:151], v[150:151], v[12:13]
	v_mov_b32_e32 v12, v149
	v_pk_add_f32 v[164:165], v[168:169], v[164:165] op_sel:[1,0] op_sel_hi:[0,1]
	v_pk_add_f32 v[74:75], v[74:75], v[78:79]
	v_pk_add_f32 v[66:67], v[66:67], v[168:169] op_sel:[0,1] op_sel_hi:[1,0] neg_lo:[0,1] neg_hi:[0,1]
	v_pk_add_f32 v[152:153], v[152:153], v[132:133]
	v_pk_add_f32 v[154:155], v[148:149], v[12:13]
	v_pk_fma_f32 v[78:79], v[74:75], s[6:7], v[164:165] op_sel_hi:[1,0,1]
	s_mov_b32 s7, s14
	v_mov_b32_e32 v164, v66
	v_pk_add_f32 v[152:153], v[152:153], v[146:147]
	v_pk_fma_f32 v[146:147], v[74:75], s[6:7], v[164:165] op_sel_hi:[1,0,1]
	v_mov_b32_e32 v155, v160
	v_pk_fma_f32 v[66:67], v[74:75], s[6:7], v[66:67] op_sel_hi:[1,0,1]
	v_pk_mul_f32 v[74:75], v[154:155], s[6:7]
	v_pk_mul_f32 v[154:155], v[146:147], s[14:15] op_sel_hi:[1,0]
	v_pk_add_f32 v[68:69], v[64:65], v[72:73]
	v_mov_b32_e32 v151, v161
	v_pk_fma_f32 v[160:161], v[146:147], s[18:19], v[154:155] op_sel:[0,0,1] op_sel_hi:[1,0,0] neg_lo:[0,0,1] neg_hi:[0,0,1]
	v_pk_fma_f32 v[146:147], v[146:147], s[18:19], v[154:155] op_sel:[0,0,1] op_sel_hi:[1,0,0]
	s_mov_b32 s18, 0xbf4f1bbd
	v_pk_add_f32 v[68:69], v[68:69], v[76:77]
	s_mov_b32 s21, s18
	v_pk_add_f32 v[68:69], v[68:69], v[130:131]
	s_mov_b32 s19, s14
	v_pk_mul_f32 v[66:67], v[66:67], s[20:21] op_sel:[1,0]
	v_pk_add_f32 v[80:81], v[68:69], v[144:145]
	v_pk_add_f32 v[68:69], v[76:77], v[130:131]
	v_fmamk_f32 v12, v167, 0x3f737871, v71
	v_pk_mul_f32 v[132:133], v[150:151], s[6:7]
	v_fmac_f32_e32 v71, 0xbf737871, v167
	v_mov_b32_e32 v161, v147
	v_pk_fma_f32 v[78:79], v[78:79], s[18:19], v[66:67] op_sel_hi:[0,1,1]
	v_pk_add_f32 v[66:67], v[72:73], v[144:145] neg_lo:[0,1] neg_hi:[0,1]
	v_pk_add_f32 v[146:147], v[72:73], v[144:145]
	v_pk_fma_f32 v[68:69], v[68:69], 0.5, v[64:65] op_sel_hi:[1,0,1] neg_lo:[1,0,0] neg_hi:[1,0,0]
	v_pk_add_f32 v[156:157], v[76:77], v[130:131] neg_lo:[0,1] neg_hi:[0,1]
	v_sub_f32_e32 v12, v12, v133
	v_add_f32_e32 v71, v133, v71
	v_pk_fma_f32 v[64:65], v[146:147], 0.5, v[64:65] op_sel_hi:[1,0,1] neg_lo:[1,0,0] neg_hi:[1,0,0]
	v_pk_mul_f32 v[146:147], v[66:67], s[14:15] op_sel_hi:[1,0]
	v_pk_add_f32 v[72:73], v[76:77], v[72:73] neg_lo:[0,1] neg_hi:[0,1]
	v_pk_add_f32 v[76:77], v[130:131], v[144:145] neg_lo:[0,1] neg_hi:[0,1]
	v_pk_mul_f32 v[66:67], v[66:67], s[12:13] op_sel_hi:[1,0]
	v_add_f32_e32 v12, v132, v12
	v_add_f32_e32 v132, v132, v71
	v_fmamk_f32 v71, v166, 0xbf737871, v85
	v_pk_add_f32 v[72:73], v[72:73], v[76:77]
	v_pk_add_f32 v[76:77], v[68:69], v[66:67] op_sel:[0,1] op_sel_hi:[1,0]
	v_pk_add_f32 v[66:67], v[68:69], v[66:67] op_sel:[0,1] op_sel_hi:[1,0] neg_lo:[0,1] neg_hi:[0,1]
	v_pk_fma_f32 v[130:131], v[156:157], s[12:13], v[64:65] op_sel:[1,0,0] op_sel_hi:[0,0,1]
	v_pk_fma_f32 v[64:65], v[156:157], s[12:13], v[64:65] op_sel:[1,0,0] op_sel_hi:[0,0,1] neg_lo:[1,0,0] neg_hi:[1,0,0]
	v_add_f32_e32 v71, v75, v71
	v_fmac_f32_e32 v85, 0x3f737871, v166
	v_pk_fma_f32 v[66:67], v[156:157], s[14:15], v[66:67] op_sel:[1,0,0] op_sel_hi:[0,0,1] neg_lo:[1,0,0] neg_hi:[1,0,0]
	v_pk_fma_f32 v[68:69], v[156:157], s[14:15], v[76:77] op_sel:[1,0,0] op_sel_hi:[0,0,1]
	v_pk_add_f32 v[144:145], v[64:65], v[146:147] op_sel:[0,1] op_sel_hi:[1,0]
	v_pk_add_f32 v[130:131], v[130:131], v[146:147] op_sel:[0,1] op_sel_hi:[1,0] neg_lo:[0,1] neg_hi:[0,1]
	v_add_f32_e32 v150, v74, v71
	v_sub_f32_e32 v71, v85, v75
	v_mov_b32_e32 v76, v68
	v_mov_b32_e32 v77, v67
	;; [unrolled: 1-line block ×4, first 2 shown]
	s_mov_b32 s13, s6
	v_add_f32_e32 v74, v74, v71
	v_pk_fma_f32 v[76:77], v[158:159], s[6:7], v[76:77] op_sel_hi:[1,0,1]
	v_pk_fma_f32 v[146:147], v[72:73], s[6:7], v[64:65] op_sel_hi:[1,0,1]
	s_mov_b32 s7, s12
	v_pk_mul_f32 v[64:65], v[150:151], s[12:13] op_sel_hi:[0,1]
	v_mov_b32_e32 v67, v69
	v_pk_fma_f32 v[154:155], v[12:13], s[6:7], v[64:65] neg_lo:[0,0,1] neg_hi:[0,0,1]
	v_pk_fma_f32 v[64:65], v[12:13], s[6:7], v[64:65] op_sel_hi:[0,1,1]
	v_pk_fma_f32 v[156:157], v[158:159], s[6:7], v[66:67] op_sel_hi:[1,0,1]
	s_mov_b32 s14, 0xbe9e377a
	s_mov_b32 s15, s12
	v_pk_mul_f32 v[66:67], v[74:75], s[12:13] op_sel_hi:[0,1]
	v_mov_b32_e32 v145, v131
	v_mov_b32_e32 v155, v65
	v_pk_fma_f32 v[74:75], v[132:133], s[14:15], v[66:67] op_sel_hi:[0,1,1] neg_lo:[0,0,1] neg_hi:[0,0,1]
	v_pk_fma_f32 v[72:73], v[72:73], s[6:7], v[144:145] op_sel_hi:[1,0,1]
	v_pk_add_f32 v[64:65], v[146:147], v[154:155]
	v_pk_add_f32 v[66:67], v[72:73], v[74:75]
	s_barrier
	ds_write_b128 v83, v[64:67] offset:16
	v_pk_add_f32 v[64:65], v[76:77], v[78:79]
	v_pk_add_f32 v[66:67], v[80:81], v[152:153] neg_lo:[0,1] neg_hi:[0,1]
	ds_write_b128 v83, v[64:67] offset:32
	v_pk_add_f32 v[64:65], v[156:157], v[160:161] neg_lo:[0,1] neg_hi:[0,1]
	v_pk_add_f32 v[66:67], v[146:147], v[154:155] neg_lo:[0,1] neg_hi:[0,1]
	v_pk_add_f32 v[148:149], v[80:81], v[152:153]
	v_pk_add_f32 v[150:151], v[156:157], v[160:161]
	v_pk_add_f32 v[68:69], v[76:77], v[78:79] neg_lo:[0,1] neg_hi:[0,1]
	ds_write_b128 v83, v[64:67] offset:48
	v_pk_add_f32 v[66:67], v[72:73], v[74:75] neg_lo:[0,1] neg_hi:[0,1]
	v_add_u32_e32 v12, 0xa00, v82
	ds_write_b128 v83, v[148:151]
	ds_write_b128 v83, v[66:69] offset:64
	s_waitcnt lgkmcnt(0)
	s_barrier
	ds_read2_b64 v[64:67], v12 offset0:4 offset1:220
	v_add_u32_e32 v12, 0x2000, v82
	ds_read2_b64 v[74:77], v82 offset1:162
	ds_read2_b64 v[78:81], v12 offset0:56 offset1:218
	ds_read2_b64 v[70:73], v70 offset0:62 offset1:224
	ds_read_b64 v[130:131], v82 offset:11232
	v_mov_b32_e32 v12, v13
	v_mov_b32_e32 v132, v14
	;; [unrolled: 1-line block ×4, first 2 shown]
	s_and_saveexec_b64 s[6:7], vcc
	s_cbranch_execz .LBB0_21
; %bb.20:
	ds_read_b64 v[114:115], v82 offset:8208
	ds_read_b64 v[112:113], v82 offset:12528
	;; [unrolled: 1-line block ×3, first 2 shown]
	s_waitcnt lgkmcnt(2)
	v_mov_b32_e32 v118, v115
	s_waitcnt lgkmcnt(1)
	v_mov_b32_e32 v116, v113
.LBB0_21:
	s_or_b64 exec, exec, s[6:7]
	v_pk_mul_f32 v[144:145], v[0:1], v[118:119] op_sel_hi:[1,0]
	v_pk_mul_f32 v[116:117], v[2:3], v[116:117] op_sel_hi:[1,0]
	v_pk_fma_f32 v[146:147], v[0:1], v[114:115], v[144:145] op_sel:[0,0,1] op_sel_hi:[1,1,0]
	v_pk_fma_f32 v[0:1], v[0:1], v[114:115], v[144:145] op_sel:[0,0,1] op_sel_hi:[1,0,0] neg_lo:[1,0,0] neg_hi:[1,0,0]
	s_mov_b32 s6, 0x3f5db3d7
	v_mov_b32_e32 v147, v1
	v_pk_fma_f32 v[0:1], v[2:3], v[112:113], v[116:117] op_sel:[0,0,1] op_sel_hi:[1,1,0]
	v_pk_fma_f32 v[2:3], v[2:3], v[112:113], v[116:117] op_sel:[0,0,1] op_sel_hi:[1,0,0] neg_lo:[1,0,0] neg_hi:[1,0,0]
	s_waitcnt lgkmcnt(4)
	v_pk_mul_f32 v[4:5], v[4:5], v[66:67]
	v_mov_b32_e32 v1, v3
	s_waitcnt lgkmcnt(0)
	v_pk_add_f32 v[2:3], v[68:69], v[146:147]
	v_pk_mul_f32 v[6:7], v[6:7], v[78:79]
	v_pk_add_f32 v[112:113], v[2:3], v[0:1]
	v_pk_add_f32 v[2:3], v[146:147], v[0:1]
	v_pk_add_f32 v[0:1], v[146:147], v[0:1] neg_lo:[0,1] neg_hi:[0,1]
	v_pk_fma_f32 v[2:3], v[2:3], 0.5, v[68:69] op_sel_hi:[1,0,1] neg_lo:[1,0,0] neg_hi:[1,0,0]
	v_pk_mul_f32 v[0:1], v[0:1], s[6:7] op_sel_hi:[1,0]
	v_pk_mul_f32 v[8:9], v[8:9], v[70:71]
	v_pk_add_f32 v[68:69], v[0:1], v[2:3] op_sel:[1,0] op_sel_hi:[0,1]
	v_pk_add_f32 v[114:115], v[2:3], v[0:1] op_sel:[0,1] op_sel_hi:[1,0] neg_lo:[0,1] neg_hi:[0,1]
	v_pk_fma_f32 v[0:1], v[128:129], v[66:67], v[4:5] op_sel:[0,0,1] op_sel_hi:[1,1,0]
	v_pk_fma_f32 v[2:3], v[128:129], v[66:67], v[4:5] op_sel:[0,0,1] op_sel_hi:[1,1,0] neg_lo:[0,0,1] neg_hi:[0,0,1]
	v_pk_fma_f32 v[4:5], v[126:127], v[78:79], v[6:7] op_sel:[0,0,1] op_sel_hi:[1,1,0] neg_lo:[0,0,1] neg_hi:[0,0,1]
	v_mov_b32_e32 v1, v3
	v_pk_fma_f32 v[2:3], v[126:127], v[78:79], v[6:7] op_sel:[0,0,1] op_sel_hi:[1,1,0]
	v_pk_mul_f32 v[10:11], v[10:11], v[80:81]
	v_mov_b32_e32 v3, v5
	v_pk_add_f32 v[4:5], v[74:75], v[0:1]
	v_pk_add_f32 v[6:7], v[0:1], v[2:3]
	v_pk_add_f32 v[0:1], v[0:1], v[2:3] neg_lo:[0,1] neg_hi:[0,1]
	v_pk_fma_f32 v[6:7], v[6:7], 0.5, v[74:75] op_sel_hi:[1,0,1] neg_lo:[1,0,0] neg_hi:[1,0,0]
	v_pk_mul_f32 v[0:1], v[0:1], s[6:7] op_sel_hi:[1,0]
	v_pk_add_f32 v[4:5], v[4:5], v[2:3]
	v_pk_add_f32 v[2:3], v[6:7], v[0:1] op_sel:[0,1] op_sel_hi:[1,0] neg_lo:[0,1] neg_hi:[0,1]
	v_pk_add_f32 v[0:1], v[6:7], v[0:1] op_sel:[0,1] op_sel_hi:[1,0]
	s_nop 0
	v_mov_b32_e32 v7, v1
	v_mov_b32_e32 v1, v3
	s_barrier
	v_mov_b32_e32 v6, v2
	ds_write_b64 v95, v[0:1] offset:160
	v_pk_fma_f32 v[0:1], v[124:125], v[70:71], v[8:9] op_sel:[0,0,1] op_sel_hi:[1,1,0]
	v_pk_fma_f32 v[2:3], v[124:125], v[70:71], v[8:9] op_sel:[0,0,1] op_sel_hi:[1,1,0] neg_lo:[0,0,1] neg_hi:[0,0,1]
	ds_write2_b64 v95, v[4:5], v[6:7] offset1:10
	v_mov_b32_e32 v1, v3
	v_pk_fma_f32 v[2:3], v[122:123], v[80:81], v[10:11] op_sel:[0,0,1] op_sel_hi:[1,1,0]
	v_pk_fma_f32 v[4:5], v[122:123], v[80:81], v[10:11] op_sel:[0,0,1] op_sel_hi:[1,1,0] neg_lo:[0,0,1] neg_hi:[0,0,1]
	v_pk_mul_f32 v[12:13], v[12:13], v[72:73]
	v_mov_b32_e32 v3, v5
	v_pk_add_f32 v[4:5], v[0:1], v[2:3]
	v_pk_add_f32 v[6:7], v[0:1], v[2:3] neg_lo:[0,1] neg_hi:[0,1]
	v_pk_fma_f32 v[4:5], v[4:5], 0.5, v[76:77] op_sel_hi:[1,0,1] neg_lo:[1,0,0] neg_hi:[1,0,0]
	v_pk_mul_f32 v[6:7], v[6:7], s[6:7] op_sel_hi:[1,0]
	v_pk_add_f32 v[0:1], v[76:77], v[0:1]
	v_pk_add_f32 v[8:9], v[4:5], v[6:7] op_sel:[0,1] op_sel_hi:[1,0]
	v_pk_add_f32 v[4:5], v[4:5], v[6:7] op_sel:[0,1] op_sel_hi:[1,0] neg_lo:[0,1] neg_hi:[0,1]
	v_pk_add_f32 v[0:1], v[0:1], v[2:3]
	v_mov_b32_e32 v2, v4
	v_mov_b32_e32 v3, v9
	v_pk_mul_f32 v[14:15], v[14:15], v[130:131]
	ds_write2_b64 v135, v[0:1], v[2:3] offset1:10
	v_pk_fma_f32 v[0:1], v[120:121], v[72:73], v[12:13] op_sel:[0,0,1] op_sel_hi:[1,1,0]
	v_pk_fma_f32 v[2:3], v[120:121], v[72:73], v[12:13] op_sel:[0,0,1] op_sel_hi:[1,1,0] neg_lo:[0,0,1] neg_hi:[0,0,1]
	v_mov_b32_e32 v9, v5
	v_mov_b32_e32 v1, v3
	v_pk_fma_f32 v[2:3], v[132:133], v[130:131], v[14:15] op_sel:[0,0,1] op_sel_hi:[1,1,0]
	v_pk_fma_f32 v[4:5], v[132:133], v[130:131], v[14:15] op_sel:[0,0,1] op_sel_hi:[1,1,0] neg_lo:[0,0,1] neg_hi:[0,0,1]
	ds_write_b64 v135, v[8:9] offset:160
	v_mov_b32_e32 v3, v5
	v_pk_add_f32 v[4:5], v[0:1], v[2:3]
	v_pk_add_f32 v[6:7], v[0:1], v[2:3] neg_lo:[0,1] neg_hi:[0,1]
	v_pk_fma_f32 v[4:5], v[4:5], 0.5, v[64:65] op_sel_hi:[1,0,1] neg_lo:[1,0,0] neg_hi:[1,0,0]
	v_pk_mul_f32 v[6:7], v[6:7], s[6:7] op_sel_hi:[1,0]
	v_pk_add_f32 v[0:1], v[64:65], v[0:1]
	v_pk_add_f32 v[8:9], v[4:5], v[6:7] op_sel:[0,1] op_sel_hi:[1,0]
	v_pk_add_f32 v[4:5], v[4:5], v[6:7] op_sel:[0,1] op_sel_hi:[1,0] neg_lo:[0,1] neg_hi:[0,1]
	v_pk_add_f32 v[0:1], v[0:1], v[2:3]
	v_mov_b32_e32 v2, v4
	v_mov_b32_e32 v3, v9
	;; [unrolled: 1-line block ×3, first 2 shown]
	ds_write2_b64 v138, v[0:1], v[2:3] offset1:10
	ds_write_b64 v138, v[8:9] offset:160
	s_and_saveexec_b64 s[6:7], vcc
	s_cbranch_execz .LBB0_23
; %bb.22:
	v_lshlrev_b32_e32 v2, 3, v139
	v_mov_b32_e32 v0, v114
	v_mov_b32_e32 v1, v69
	ds_write2_b64 v2, v[112:113], v[0:1] offset1:10
	v_mov_b32_e32 v0, v68
	v_mov_b32_e32 v1, v115
	ds_write_b64 v2, v[0:1] offset:160
.LBB0_23:
	s_or_b64 exec, exec, s[6:7]
	v_add_u32_e32 v4, 0xa00, v82
	s_waitcnt lgkmcnt(0)
	s_barrier
	ds_read2_b64 v[12:15], v4 offset0:4 offset1:220
	v_add_u32_e32 v4, 0x2000, v82
	v_add_u32_e32 v8, 0x1400, v82
	ds_read2_b64 v[0:3], v82 offset1:162
	ds_read2_b64 v[4:7], v4 offset0:56 offset1:218
	ds_read2_b64 v[8:11], v8 offset0:62 offset1:224
	ds_read_b64 v[74:75], v82 offset:11232
	s_and_saveexec_b64 s[6:7], s[0:1]
	s_xor_b64 s[0:1], exec, s[6:7]
	s_or_saveexec_b64 s[0:1], s[0:1]
	v_mov_b32_e32 v78, v28
	v_mov_b32_e32 v79, v28
	v_mov_b32_e32 v28, v29
	v_mov_b32_e32 v76, v30
	v_mov_b32_e32 v77, v30
	v_mov_b32_e32 v30, v31
	v_mov_b32_e32 v72, v24
	v_mov_b32_e32 v73, v24
	v_mov_b32_e32 v24, v25
	v_mov_b32_e32 v70, v26
	v_mov_b32_e32 v71, v26
	v_mov_b32_e32 v26, v27
	v_mov_b32_e32 v66, v20
	v_mov_b32_e32 v67, v20
	v_mov_b32_e32 v20, v21
	v_mov_b32_e32 v64, v22
	v_mov_b32_e32 v65, v22
	v_mov_b32_e32 v22, v23
	s_xor_b64 exec, exec, s[0:1]
	s_cbranch_execz .LBB0_25
; %bb.24:
	ds_read_b64 v[80:81], v82 offset:12528
	ds_read_b64 v[114:115], v82 offset:8208
	;; [unrolled: 1-line block ×3, first 2 shown]
	s_waitcnt lgkmcnt(2)
	v_mov_b32_e32 v68, v80
	s_waitcnt lgkmcnt(1)
	v_mov_b32_e32 v69, v115
	v_mov_b32_e32 v115, v81
.LBB0_25:
	s_or_b64 exec, exec, s[0:1]
	s_waitcnt lgkmcnt(1)
	v_pk_mul_f32 v[80:81], v[20:21], v[8:9]
	v_pk_mul_f32 v[20:21], v[28:29], v[10:11]
	;; [unrolled: 1-line block ×3, first 2 shown]
	s_waitcnt lgkmcnt(0)
	v_pk_mul_f32 v[22:23], v[30:31], v[74:75]
	v_pk_fma_f32 v[120:121], v[78:79], v[10:11], v[20:21] op_sel:[0,0,1] op_sel_hi:[1,1,0]
	v_pk_fma_f32 v[10:11], v[78:79], v[10:11], v[20:21] op_sel:[0,0,1] op_sel_hi:[1,1,0] neg_lo:[0,0,1] neg_hi:[0,0,1]
	v_pk_fma_f32 v[20:21], v[76:77], v[74:75], v[22:23] op_sel:[0,0,1] op_sel_hi:[1,1,0]
	v_mov_b32_e32 v121, v11
	v_pk_fma_f32 v[10:11], v[76:77], v[74:75], v[22:23] op_sel:[0,0,1] op_sel_hi:[1,1,0] neg_lo:[0,0,1] neg_hi:[0,0,1]
	s_mov_b32 s0, 0x3f5db3d7
	v_mov_b32_e32 v21, v11
	v_pk_add_f32 v[10:11], v[12:13], v[120:121]
	v_pk_add_f32 v[22:23], v[120:121], v[20:21]
	;; [unrolled: 1-line block ×3, first 2 shown]
	v_pk_add_f32 v[20:21], v[120:121], v[20:21] neg_lo:[0,1] neg_hi:[0,1]
	v_pk_mul_f32 v[28:29], v[16:17], v[68:69] op_sel:[0,1]
	v_pk_fma_f32 v[12:13], v[22:23], 0.5, v[12:13] op_sel_hi:[1,0,1] neg_lo:[1,0,0] neg_hi:[1,0,0]
	v_pk_mul_f32 v[22:23], v[20:21], s[0:1] op_sel_hi:[1,0]
	v_pk_mul_f32 v[30:31], v[18:19], v[114:115] op_sel:[0,1]
	v_pk_add_f32 v[20:21], v[22:23], v[12:13] op_sel:[1,0] op_sel_hi:[0,1]
	v_pk_add_f32 v[12:13], v[12:13], v[22:23] op_sel:[0,1] op_sel_hi:[1,0] neg_lo:[0,1] neg_hi:[0,1]
	v_pk_fma_f32 v[22:23], v[16:17], v[114:115], v[28:29] op_sel:[0,0,1] op_sel_hi:[1,1,0]
	v_pk_fma_f32 v[16:17], v[16:17], v[114:115], v[28:29] op_sel:[0,0,1] op_sel_hi:[1,0,0] neg_lo:[1,0,0] neg_hi:[1,0,0]
	v_pk_fma_f32 v[28:29], v[18:19], v[68:69], v[30:31] op_sel:[0,0,1] op_sel_hi:[1,1,0]
	v_mov_b32_e32 v23, v17
	v_pk_fma_f32 v[16:17], v[18:19], v[68:69], v[30:31] op_sel:[0,0,1] op_sel_hi:[1,0,0] neg_lo:[1,0,0] neg_hi:[1,0,0]
	v_pk_mul_f32 v[24:25], v[24:25], v[14:15]
	v_mov_b32_e32 v29, v17
	v_pk_add_f32 v[16:17], v[112:113], v[22:23]
	v_pk_add_f32 v[18:19], v[22:23], v[28:29]
	v_pk_mul_f32 v[26:27], v[26:27], v[4:5]
	v_pk_add_f32 v[16:17], v[16:17], v[28:29]
	v_pk_fma_f32 v[30:31], v[18:19], 0.5, v[112:113] op_sel_hi:[1,0,1] neg_lo:[1,0,0] neg_hi:[1,0,0]
	v_pk_add_f32 v[18:19], v[22:23], v[28:29] neg_lo:[0,1] neg_hi:[0,1]
	v_pk_fma_f32 v[28:29], v[72:73], v[14:15], v[24:25] op_sel:[0,0,1] op_sel_hi:[1,1,0]
	v_pk_fma_f32 v[14:15], v[72:73], v[14:15], v[24:25] op_sel:[0,0,1] op_sel_hi:[1,1,0] neg_lo:[0,0,1] neg_hi:[0,0,1]
	s_nop 0
	v_mov_b32_e32 v29, v15
	v_pk_fma_f32 v[14:15], v[70:71], v[4:5], v[26:27] op_sel:[0,0,1] op_sel_hi:[1,1,0]
	v_pk_fma_f32 v[4:5], v[70:71], v[4:5], v[26:27] op_sel:[0,0,1] op_sel_hi:[1,1,0] neg_lo:[0,0,1] neg_hi:[0,0,1]
	s_barrier
	v_mov_b32_e32 v15, v5
	v_pk_add_f32 v[4:5], v[0:1], v[28:29]
	v_pk_add_f32 v[24:25], v[28:29], v[14:15]
	;; [unrolled: 1-line block ×3, first 2 shown]
	v_pk_add_f32 v[14:15], v[28:29], v[14:15] neg_lo:[0,1] neg_hi:[0,1]
	v_pk_fma_f32 v[0:1], v[24:25], 0.5, v[0:1] op_sel_hi:[1,0,1] neg_lo:[1,0,0] neg_hi:[1,0,0]
	v_pk_mul_f32 v[14:15], v[14:15], s[0:1] op_sel_hi:[1,0]
	s_nop 0
	v_pk_add_f32 v[24:25], v[0:1], v[14:15] op_sel:[0,1] op_sel_hi:[1,0] neg_lo:[0,1] neg_hi:[0,1]
	v_pk_add_f32 v[0:1], v[0:1], v[14:15] op_sel:[0,1] op_sel_hi:[1,0]
	v_mov_b32_e32 v14, v24
	v_mov_b32_e32 v15, v1
	;; [unrolled: 1-line block ×3, first 2 shown]
	ds_write2_b64 v141, v[4:5], v[14:15] offset1:30
	ds_write_b64 v141, v[0:1] offset:480
	v_pk_fma_f32 v[0:1], v[66:67], v[8:9], v[80:81] op_sel:[0,0,1] op_sel_hi:[1,1,0]
	v_pk_fma_f32 v[4:5], v[66:67], v[8:9], v[80:81] op_sel:[0,0,1] op_sel_hi:[1,1,0] neg_lo:[0,0,1] neg_hi:[0,0,1]
	v_pk_mul_f32 v[22:23], v[18:19], s[0:1] op_sel_hi:[1,0]
	v_mov_b32_e32 v1, v5
	v_pk_fma_f32 v[4:5], v[64:65], v[6:7], v[116:117] op_sel:[0,0,1] op_sel_hi:[1,1,0]
	v_pk_fma_f32 v[6:7], v[64:65], v[6:7], v[116:117] op_sel:[0,0,1] op_sel_hi:[1,1,0] neg_lo:[0,0,1] neg_hi:[0,0,1]
	v_pk_add_f32 v[18:19], v[22:23], v[30:31] op_sel:[1,0] op_sel_hi:[0,1]
	v_mov_b32_e32 v5, v7
	v_pk_add_f32 v[6:7], v[0:1], v[4:5]
	v_pk_add_f32 v[8:9], v[0:1], v[4:5] neg_lo:[0,1] neg_hi:[0,1]
	v_pk_fma_f32 v[6:7], v[6:7], 0.5, v[2:3] op_sel_hi:[1,0,1] neg_lo:[1,0,0] neg_hi:[1,0,0]
	v_pk_mul_f32 v[8:9], v[8:9], s[0:1] op_sel_hi:[1,0]
	v_pk_add_f32 v[0:1], v[2:3], v[0:1]
	v_pk_add_f32 v[14:15], v[6:7], v[8:9] op_sel:[0,1] op_sel_hi:[1,0]
	v_pk_add_f32 v[6:7], v[6:7], v[8:9] op_sel:[0,1] op_sel_hi:[1,0] neg_lo:[0,1] neg_hi:[0,1]
	v_pk_add_f32 v[0:1], v[0:1], v[4:5]
	v_mov_b32_e32 v2, v6
	v_mov_b32_e32 v3, v15
	ds_write2_b64 v140, v[0:1], v[2:3] offset1:30
	v_mov_b32_e32 v15, v7
	v_mov_b32_e32 v0, v12
	;; [unrolled: 1-line block ×3, first 2 shown]
	v_pk_add_f32 v[22:23], v[30:31], v[22:23] op_sel:[0,1] op_sel_hi:[1,0] neg_lo:[0,1] neg_hi:[0,1]
	ds_write_b64 v140, v[14:15] offset:480
	ds_write2_b64 v142, v[10:11], v[0:1] offset1:30
	v_mov_b32_e32 v0, v20
	v_mov_b32_e32 v1, v13
	ds_write_b64 v142, v[0:1] offset:480
	s_and_saveexec_b64 s[0:1], vcc
	s_cbranch_execz .LBB0_27
; %bb.26:
	s_movk_i32 s6, 0x5a
	v_mad_legacy_u16 v0, v119, s6, v134
	v_lshlrev_b32_e32 v2, 3, v0
	v_mov_b32_e32 v0, v22
	v_mov_b32_e32 v1, v19
	ds_write2_b64 v2, v[16:17], v[0:1] offset1:30
	v_mov_b32_e32 v0, v18
	v_mov_b32_e32 v1, v23
	ds_write_b64 v2, v[0:1] offset:480
.LBB0_27:
	s_or_b64 exec, exec, s[0:1]
	s_waitcnt lgkmcnt(0)
	s_barrier
	ds_read_b64 v[0:1], v82
	ds_read_b64 v[14:15], v82 offset:2160
	ds_read_b64 v[8:9], v82 offset:4320
	;; [unrolled: 1-line block ×5, first 2 shown]
	s_and_saveexec_b64 s[0:1], s[4:5]
	s_xor_b64 s[0:1], exec, s[0:1]
	s_or_saveexec_b64 s[0:1], s[0:1]
	v_mov_b32_e32 v64, v44
	v_mov_b32_e32 v65, v44
	;; [unrolled: 1-line block ×15, first 2 shown]
	s_xor_b64 exec, exec, s[0:1]
	s_cbranch_execz .LBB0_29
; %bb.28:
	ds_read_b64 v[66:67], v82 offset:5616
	ds_read_b64 v[10:11], v82 offset:1296
	;; [unrolled: 1-line block ×6, first 2 shown]
	s_waitcnt lgkmcnt(5)
	v_mov_b32_e32 v20, v66
	s_waitcnt lgkmcnt(3)
	v_mov_b32_e32 v21, v13
	;; [unrolled: 2-line block ×4, first 2 shown]
	v_mov_b32_e32 v13, v67
	v_mov_b32_e32 v23, v69
.LBB0_29:
	s_or_b64 exec, exec, s[0:1]
	v_pk_mul_f32 v[68:69], v[36:37], v[20:21] op_sel:[0,1]
	v_pk_mul_f32 v[70:71], v[38:39], v[12:13] op_sel:[0,1]
	s_waitcnt lgkmcnt(0)
	v_pk_mul_f32 v[72:73], v[32:33], v[16:17] op_sel:[0,1]
	v_pk_fma_f32 v[78:79], v[36:37], v[12:13], v[68:69] op_sel:[0,0,1] op_sel_hi:[1,0,0]
	v_pk_fma_f32 v[36:37], v[36:37], v[12:13], v[68:69] op_sel:[0,0,1] op_sel_hi:[1,0,0] neg_lo:[1,0,0] neg_hi:[1,0,0]
	v_pk_fma_f32 v[68:69], v[38:39], v[20:21], v[70:71] op_sel:[0,0,1] op_sel_hi:[1,1,0]
	v_pk_fma_f32 v[12:13], v[38:39], v[20:21], v[70:71] op_sel:[0,0,1] op_sel_hi:[1,0,0] neg_lo:[1,0,0] neg_hi:[1,0,0]
	v_pk_mul_f32 v[74:75], v[34:35], v[18:19] op_sel:[0,1]
	v_mov_b32_e32 v69, v13
	v_pk_fma_f32 v[20:21], v[32:33], v[16:17], v[72:73] op_sel:[0,0,1] op_sel_hi:[1,1,0]
	v_pk_fma_f32 v[12:13], v[32:33], v[16:17], v[72:73] op_sel:[0,0,1] op_sel_hi:[1,0,0] neg_lo:[1,0,0] neg_hi:[1,0,0]
	v_pk_mul_f32 v[76:77], v[108:109], v[22:23] op_sel:[0,1]
	v_mov_b32_e32 v21, v13
	v_pk_fma_f32 v[16:17], v[34:35], v[22:23], v[74:75] op_sel:[0,0,1] op_sel_hi:[1,1,0]
	v_pk_fma_f32 v[12:13], v[34:35], v[22:23], v[74:75] op_sel:[0,0,1] op_sel_hi:[1,0,0] neg_lo:[1,0,0] neg_hi:[1,0,0]
	v_pk_fma_f32 v[22:23], v[108:109], v[18:19], v[76:77] op_sel:[0,0,1] op_sel_hi:[1,1,0]
	v_mov_b32_e32 v17, v13
	v_pk_fma_f32 v[12:13], v[108:109], v[18:19], v[76:77] op_sel:[0,0,1] op_sel_hi:[1,0,0] neg_lo:[1,0,0] neg_hi:[1,0,0]
	v_mov_b32_e32 v79, v37
	v_mov_b32_e32 v23, v13
	v_pk_add_f32 v[18:19], v[20:21], v[22:23]
	v_mov_b32_e32 v36, v78
	v_pk_add_f32 v[12:13], v[10:11], v[68:69]
	v_fmac_f32_e32 v36, -0.5, v18
	v_pk_add_f32 v[32:33], v[20:21], v[22:23] neg_lo:[0,1] neg_hi:[0,1]
	v_pk_add_f32 v[20:21], v[78:79], v[20:21]
	v_fmac_f32_e32 v37, -0.5, v19
	v_pk_add_f32 v[12:13], v[12:13], v[16:17]
	v_fmamk_f32 v18, v33, 0xbf5db3d7, v36
	s_mov_b32 s4, 0x3f5db3d7
	v_fmac_f32_e32 v36, 0x3f5db3d7, v33
	v_pk_add_f32 v[22:23], v[20:21], v[22:23]
	v_fmamk_f32 v20, v32, 0x3f5db3d7, v37
	v_fmac_f32_e32 v37, 0xbf5db3d7, v32
	v_pk_add_f32 v[32:33], v[68:69], v[16:17]
	v_pk_add_f32 v[16:17], v[68:69], v[16:17] neg_lo:[0,1] neg_hi:[0,1]
	v_pk_fma_f32 v[10:11], v[32:33], 0.5, v[10:11] op_sel_hi:[1,0,1] neg_lo:[1,0,0] neg_hi:[1,0,0]
	v_pk_mul_f32 v[16:17], v[16:17], s[4:5] op_sel_hi:[1,0]
	v_pk_mul_f32 v[44:45], v[44:45], v[14:15]
	v_pk_mul_f32 v[46:47], v[46:47], v[8:9]
	v_pk_add_f32 v[38:39], v[10:11], v[16:17] op_sel:[0,1] op_sel_hi:[1,0] neg_lo:[0,1] neg_hi:[0,1]
	v_pk_add_f32 v[10:11], v[10:11], v[16:17] op_sel:[0,1] op_sel_hi:[1,0]
	v_pk_mul_f32 v[40:41], v[40:41], v[6:7]
	v_mov_b32_e32 v32, v38
	v_mov_b32_e32 v33, v11
	;; [unrolled: 1-line block ×3, first 2 shown]
	v_pk_fma_f32 v[38:39], v[64:65], v[14:15], v[44:45] op_sel:[0,0,1] op_sel_hi:[1,1,0]
	v_pk_fma_f32 v[14:15], v[64:65], v[14:15], v[44:45] op_sel:[0,0,1] op_sel_hi:[1,1,0] neg_lo:[0,0,1] neg_hi:[0,0,1]
	v_pk_fma_f32 v[44:45], v[30:31], v[8:9], v[46:47] op_sel:[0,0,1] op_sel_hi:[1,1,0]
	v_pk_fma_f32 v[8:9], v[30:31], v[8:9], v[46:47] op_sel:[0,0,1] op_sel_hi:[1,1,0] neg_lo:[0,0,1] neg_hi:[0,0,1]
	v_pk_mul_f32 v[42:43], v[42:43], v[4:5]
	v_mov_b32_e32 v45, v9
	v_pk_fma_f32 v[8:9], v[28:29], v[6:7], v[40:41] op_sel:[0,0,1] op_sel_hi:[1,1,0]
	v_pk_fma_f32 v[6:7], v[28:29], v[6:7], v[40:41] op_sel:[0,0,1] op_sel_hi:[1,1,0] neg_lo:[0,0,1] neg_hi:[0,0,1]
	v_pk_mul_f32 v[66:67], v[110:111], v[2:3]
	v_mov_b32_e32 v9, v7
	v_pk_fma_f32 v[6:7], v[26:27], v[4:5], v[42:43] op_sel:[0,0,1] op_sel_hi:[1,1,0]
	v_pk_fma_f32 v[4:5], v[26:27], v[4:5], v[42:43] op_sel:[0,0,1] op_sel_hi:[1,1,0] neg_lo:[0,0,1] neg_hi:[0,0,1]
	v_mov_b32_e32 v39, v15
	v_mov_b32_e32 v7, v5
	v_pk_fma_f32 v[4:5], v[24:25], v[2:3], v[66:67] op_sel:[0,0,1] op_sel_hi:[1,1,0]
	v_pk_fma_f32 v[2:3], v[24:25], v[2:3], v[66:67] op_sel:[0,0,1] op_sel_hi:[1,1,0] neg_lo:[0,0,1] neg_hi:[0,0,1]
	s_mov_b32 s6, 0.5
	v_mov_b32_e32 v5, v3
	v_pk_add_f32 v[24:25], v[8:9], v[4:5]
	v_pk_add_f32 v[2:3], v[0:1], v[44:45]
	v_mov_b32_e32 v14, v38
	v_pk_add_f32 v[26:27], v[8:9], v[4:5] neg_lo:[0,1] neg_hi:[0,1]
	v_pk_add_f32 v[8:9], v[38:39], v[8:9]
	v_fmac_f32_e32 v15, -0.5, v25
	s_mov_b32 s5, s6
	v_pk_add_f32 v[2:3], v[2:3], v[6:7]
	v_fmac_f32_e32 v14, -0.5, v24
	v_pk_add_f32 v[4:5], v[8:9], v[4:5]
	v_fmamk_f32 v8, v26, 0x3f5db3d7, v15
	v_pk_add_f32 v[28:29], v[44:45], v[6:7]
	v_pk_add_f32 v[6:7], v[44:45], v[6:7] neg_lo:[0,1] neg_hi:[0,1]
	s_mov_b32 s7, s4
	v_fmamk_f32 v24, v27, 0xbf5db3d7, v14
	v_pk_fma_f32 v[0:1], v[28:29], 0.5, v[0:1] op_sel_hi:[1,0,1] neg_lo:[1,0,0] neg_hi:[1,0,0]
	v_pk_mul_f32 v[6:7], v[6:7], s[4:5] op_sel_hi:[1,0]
	v_pk_mul_f32 v[8:9], v[8:9], s[4:5] op_sel_hi:[0,1]
	v_pk_add_f32 v[28:29], v[0:1], v[6:7] op_sel:[0,1] op_sel_hi:[1,0] neg_lo:[0,1] neg_hi:[0,1]
	v_pk_add_f32 v[0:1], v[0:1], v[6:7] op_sel:[0,1] op_sel_hi:[1,0]
	v_pk_fma_f32 v[30:31], v[24:25], s[6:7], v[8:9] neg_lo:[0,0,1] neg_hi:[0,0,1]
	v_pk_fma_f32 v[8:9], v[24:25], s[6:7], v[8:9] op_sel_hi:[0,1,1]
	v_mov_b32_e32 v6, v28
	v_mov_b32_e32 v7, v1
	;; [unrolled: 1-line block ×3, first 2 shown]
	v_pk_mul_f32 v[16:17], v[20:21], s[4:5] op_sel_hi:[0,1]
	v_fmac_f32_e32 v14, 0x3f5db3d7, v27
	v_fmac_f32_e32 v15, 0xbf5db3d7, v26
	v_pk_add_f32 v[26:27], v[2:3], v[4:5]
	v_pk_add_f32 v[8:9], v[6:7], v[30:31]
	v_pk_fma_f32 v[34:35], v[18:19], s[6:7], v[16:17] neg_lo:[0,0,1] neg_hi:[0,0,1]
	v_pk_fma_f32 v[16:17], v[18:19], s[6:7], v[16:17] op_sel_hi:[0,1,1]
	s_barrier
	ds_write2_b64 v143, v[26:27], v[8:9] offset1:90
	v_mov_b32_e32 v8, v15
	s_mov_b32 s0, -0.5
	s_mov_b32 s1, s4
	v_mov_b32_e32 v16, v37
	v_pk_mul_f32 v[8:9], v[8:9], s[4:5] op_sel_hi:[0,1]
	v_mov_b32_e32 v35, v17
	v_pk_mul_f32 v[16:17], v[16:17], s[4:5] op_sel_hi:[0,1]
	v_pk_fma_f32 v[8:9], v[14:15], s[0:1], v[8:9] op_sel_hi:[0,1,1] neg_lo:[0,0,1] neg_hi:[0,0,1]
	v_mov_b32_e32 v1, v29
	v_pk_fma_f32 v[36:37], v[36:37], s[0:1], v[16:17] op_sel_hi:[0,1,1] neg_lo:[0,0,1] neg_hi:[0,0,1]
	v_pk_add_f32 v[14:15], v[0:1], v[8:9]
	v_pk_add_f32 v[2:3], v[2:3], v[4:5] neg_lo:[0,1] neg_hi:[0,1]
	v_add_u32_e32 v4, 0x400, v143
	v_pk_add_f32 v[16:17], v[12:13], v[22:23] neg_lo:[0,1] neg_hi:[0,1]
	v_pk_add_f32 v[20:21], v[32:33], v[34:35] neg_lo:[0,1] neg_hi:[0,1]
	v_pk_add_f32 v[18:19], v[10:11], v[36:37] neg_lo:[0,1] neg_hi:[0,1]
	ds_write2_b64 v4, v[14:15], v[2:3] offset0:52 offset1:142
	v_pk_add_f32 v[2:3], v[6:7], v[30:31] neg_lo:[0,1] neg_hi:[0,1]
	v_pk_add_f32 v[0:1], v[0:1], v[8:9] neg_lo:[0,1] neg_hi:[0,1]
	v_add_u32_e32 v4, 0x800, v143
	ds_write2_b64 v4, v[2:3], v[0:1] offset0:104 offset1:194
	s_and_saveexec_b64 s[0:1], s[2:3]
	s_cbranch_execz .LBB0_31
; %bb.30:
	s_movk_i32 s2, 0x21c
	v_mad_legacy_u16 v0, v136, s2, v137
	v_lshlrev_b32_e32 v4, 3, v0
	v_pk_add_f32 v[0:1], v[12:13], v[22:23]
	v_pk_add_f32 v[2:3], v[32:33], v[34:35]
	ds_write2_b64 v4, v[0:1], v[2:3] offset1:90
	v_pk_add_f32 v[0:1], v[10:11], v[36:37]
	v_add_u32_e32 v2, 0x400, v4
	ds_write2_b64 v2, v[0:1], v[16:17] offset0:52 offset1:142
	v_add_u32_e32 v0, 0x800, v4
	ds_write2_b64 v0, v[20:21], v[18:19] offset0:104 offset1:194
.LBB0_31:
	s_or_b64 exec, exec, s[0:1]
	v_add_u32_e32 v0, 0xa00, v82
	v_add_u32_e32 v4, 0x2000, v82
	;; [unrolled: 1-line block ×3, first 2 shown]
	s_waitcnt lgkmcnt(0)
	s_barrier
	ds_read2_b64 v[8:11], v82 offset1:162
	ds_read2_b64 v[0:3], v0 offset0:4 offset1:220
	ds_read2_b64 v[12:15], v4 offset0:56 offset1:218
	;; [unrolled: 1-line block ×3, first 2 shown]
	ds_read_b64 v[24:25], v82 offset:11232
	v_mov_b32_e32 v34, v52
	v_mov_b32_e32 v35, v52
	;; [unrolled: 1-line block ×18, first 2 shown]
	s_and_saveexec_b64 s[0:1], vcc
	s_cbranch_execz .LBB0_33
; %bb.32:
	ds_read_b64 v[16:17], v82 offset:3888
	ds_read_b64 v[20:21], v82 offset:8208
	;; [unrolled: 1-line block ×3, first 2 shown]
.LBB0_33:
	s_or_b64 exec, exec, s[0:1]
	s_waitcnt lgkmcnt(3)
	v_pk_mul_f32 v[38:39], v[52:53], v[2:3]
	s_waitcnt lgkmcnt(2)
	v_pk_mul_f32 v[40:41], v[54:55], v[12:13]
	v_pk_fma_f32 v[54:55], v[34:35], v[2:3], v[38:39] op_sel:[0,0,1] op_sel_hi:[1,1,0]
	v_pk_fma_f32 v[2:3], v[34:35], v[2:3], v[38:39] op_sel:[0,0,1] op_sel_hi:[1,1,0] neg_lo:[0,0,1] neg_hi:[0,0,1]
	s_mov_b32 s0, 0x3f5db3d7
	v_mov_b32_e32 v55, v3
	v_pk_fma_f32 v[2:3], v[32:33], v[12:13], v[40:41] op_sel:[0,0,1] op_sel_hi:[1,1,0]
	v_pk_fma_f32 v[12:13], v[32:33], v[12:13], v[40:41] op_sel:[0,0,1] op_sel_hi:[1,1,0] neg_lo:[0,0,1] neg_hi:[0,0,1]
	s_waitcnt lgkmcnt(1)
	v_pk_mul_f32 v[42:43], v[56:57], v[4:5]
	v_mov_b32_e32 v3, v13
	v_pk_add_f32 v[12:13], v[8:9], v[54:55]
	v_pk_add_f32 v[32:33], v[54:55], v[2:3]
	v_pk_add_f32 v[12:13], v[12:13], v[2:3]
	v_pk_add_f32 v[2:3], v[54:55], v[2:3] neg_lo:[0,1] neg_hi:[0,1]
	v_pk_fma_f32 v[8:9], v[32:33], 0.5, v[8:9] op_sel_hi:[1,0,1] neg_lo:[1,0,0] neg_hi:[1,0,0]
	v_pk_mul_f32 v[2:3], v[2:3], s[0:1] op_sel_hi:[1,0]
	v_pk_mul_f32 v[44:45], v[58:59], v[14:15]
	v_pk_add_f32 v[32:33], v[8:9], v[2:3] op_sel:[0,1] op_sel_hi:[1,0] neg_lo:[0,1] neg_hi:[0,1]
	v_pk_add_f32 v[2:3], v[8:9], v[2:3] op_sel:[0,1] op_sel_hi:[1,0]
	v_mov_b32_e32 v8, v32
	v_mov_b32_e32 v9, v3
	;; [unrolled: 1-line block ×3, first 2 shown]
	ds_write_b64 v82, v[2:3] offset:8640
	v_pk_fma_f32 v[2:3], v[28:29], v[4:5], v[42:43] op_sel:[0,0,1] op_sel_hi:[1,1,0]
	v_pk_fma_f32 v[4:5], v[28:29], v[4:5], v[42:43] op_sel:[0,0,1] op_sel_hi:[1,1,0] neg_lo:[0,0,1] neg_hi:[0,0,1]
	ds_write_b64 v82, v[8:9] offset:4320
	v_mov_b32_e32 v3, v5
	v_pk_fma_f32 v[4:5], v[26:27], v[14:15], v[44:45] op_sel:[0,0,1] op_sel_hi:[1,1,0]
	v_pk_fma_f32 v[8:9], v[26:27], v[14:15], v[44:45] op_sel:[0,0,1] op_sel_hi:[1,1,0] neg_lo:[0,0,1] neg_hi:[0,0,1]
	v_pk_mul_f32 v[46:47], v[60:61], v[6:7]
	v_mov_b32_e32 v5, v9
	v_pk_add_f32 v[8:9], v[10:11], v[2:3]
	s_waitcnt lgkmcnt(2)
	v_pk_mul_f32 v[52:53], v[62:63], v[24:25]
	v_pk_add_f32 v[8:9], v[8:9], v[4:5]
	ds_write2_b64 v82, v[12:13], v[8:9] offset1:162
	v_pk_add_f32 v[8:9], v[2:3], v[4:5]
	v_pk_add_f32 v[2:3], v[2:3], v[4:5] neg_lo:[0,1] neg_hi:[0,1]
	v_pk_fma_f32 v[8:9], v[8:9], 0.5, v[10:11] op_sel_hi:[1,0,1] neg_lo:[1,0,0] neg_hi:[1,0,0]
	v_pk_mul_f32 v[2:3], v[2:3], s[0:1] op_sel_hi:[1,0]
	s_nop 0
	v_pk_add_f32 v[4:5], v[8:9], v[2:3] op_sel:[0,1] op_sel_hi:[1,0] neg_lo:[0,1] neg_hi:[0,1]
	v_pk_add_f32 v[2:3], v[8:9], v[2:3] op_sel:[0,1] op_sel_hi:[1,0]
	v_mov_b32_e32 v8, v4
	v_mov_b32_e32 v9, v3
	;; [unrolled: 1-line block ×3, first 2 shown]
	ds_write_b64 v82, v[2:3] offset:9936
	v_pk_fma_f32 v[2:3], v[22:23], v[6:7], v[46:47] op_sel:[0,0,1] op_sel_hi:[1,1,0]
	v_pk_fma_f32 v[4:5], v[22:23], v[6:7], v[46:47] op_sel:[0,0,1] op_sel_hi:[1,1,0] neg_lo:[0,0,1] neg_hi:[0,0,1]
	v_pk_fma_f32 v[6:7], v[30:31], v[24:25], v[52:53] op_sel:[0,0,1] op_sel_hi:[1,1,0] neg_lo:[0,0,1] neg_hi:[0,0,1]
	v_mov_b32_e32 v3, v5
	v_pk_fma_f32 v[4:5], v[30:31], v[24:25], v[52:53] op_sel:[0,0,1] op_sel_hi:[1,1,0]
	s_nop 0
	v_mov_b32_e32 v5, v7
	v_pk_add_f32 v[6:7], v[0:1], v[2:3]
	s_nop 0
	v_pk_add_f32 v[6:7], v[6:7], v[4:5]
	ds_write_b64 v82, v[6:7] offset:2592
	v_pk_add_f32 v[6:7], v[2:3], v[4:5]
	v_pk_add_f32 v[2:3], v[2:3], v[4:5] neg_lo:[0,1] neg_hi:[0,1]
	v_pk_fma_f32 v[0:1], v[6:7], 0.5, v[0:1] op_sel_hi:[1,0,1] neg_lo:[1,0,0] neg_hi:[1,0,0]
	v_pk_mul_f32 v[2:3], v[2:3], s[0:1] op_sel_hi:[1,0]
	s_nop 0
	v_pk_add_f32 v[4:5], v[0:1], v[2:3] op_sel:[0,1] op_sel_hi:[1,0] neg_lo:[0,1] neg_hi:[0,1]
	v_pk_add_f32 v[0:1], v[0:1], v[2:3] op_sel:[0,1] op_sel_hi:[1,0]
	v_mov_b32_e32 v2, v4
	v_mov_b32_e32 v3, v1
	;; [unrolled: 1-line block ×3, first 2 shown]
	ds_write2_b64 v36, v[8:9], v[2:3] offset0:62 offset1:224
	ds_write_b64 v82, v[0:1] offset:11232
	s_and_saveexec_b64 s[2:3], vcc
	s_cbranch_execz .LBB0_35
; %bb.34:
	v_pk_mul_f32 v[0:1], v[48:49], v[20:21] op_sel:[0,1]
	v_pk_mul_f32 v[2:3], v[50:51], v[18:19] op_sel:[0,1]
	v_pk_fma_f32 v[4:5], v[48:49], v[20:21], v[0:1] op_sel:[0,0,1] op_sel_hi:[1,1,0]
	v_pk_fma_f32 v[0:1], v[48:49], v[20:21], v[0:1] op_sel:[0,0,1] op_sel_hi:[1,0,0] neg_lo:[1,0,0] neg_hi:[1,0,0]
	s_nop 0
	v_mov_b32_e32 v5, v1
	v_pk_fma_f32 v[0:1], v[50:51], v[18:19], v[2:3] op_sel:[0,0,1] op_sel_hi:[1,1,0]
	v_pk_fma_f32 v[2:3], v[50:51], v[18:19], v[2:3] op_sel:[0,0,1] op_sel_hi:[1,0,0] neg_lo:[1,0,0] neg_hi:[1,0,0]
	s_nop 0
	v_mov_b32_e32 v1, v3
	v_pk_add_f32 v[2:3], v[16:17], v[4:5]
	s_nop 0
	v_pk_add_f32 v[2:3], v[2:3], v[0:1]
	ds_write_b64 v82, v[2:3] offset:3888
	v_pk_add_f32 v[2:3], v[4:5], v[0:1]
	v_pk_add_f32 v[0:1], v[4:5], v[0:1] neg_lo:[0,1] neg_hi:[0,1]
	v_pk_fma_f32 v[2:3], -0.5, v[2:3], v[16:17] op_sel_hi:[0,1,1]
	v_pk_mul_f32 v[0:1], v[0:1], s[0:1] op_sel_hi:[1,0]
	s_nop 0
	v_pk_add_f32 v[4:5], v[2:3], v[0:1] op_sel:[0,1] op_sel_hi:[1,0] neg_lo:[0,1] neg_hi:[0,1]
	v_pk_add_f32 v[0:1], v[2:3], v[0:1] op_sel:[0,1] op_sel_hi:[1,0]
	v_mov_b32_e32 v2, v4
	v_mov_b32_e32 v3, v1
	;; [unrolled: 1-line block ×3, first 2 shown]
	ds_write_b64 v82, v[2:3] offset:8208
	ds_write_b64 v82, v[0:1] offset:12528
.LBB0_35:
	s_or_b64 exec, exec, s[2:3]
	s_waitcnt lgkmcnt(0)
	s_barrier
	ds_read2_b64 v[0:3], v82 offset1:162
	v_mad_u64_u32 v[6:7], s[0:1], s10, v94, 0
	v_mov_b32_e32 v8, v7
	v_mad_u64_u32 v[8:9], s[0:1], s11, v94, v[8:9]
	v_mov_b32_e32 v7, v8
	s_waitcnt lgkmcnt(0)
	v_mul_f32_e32 v8, v107, v1
	v_fmac_f32_e32 v8, v106, v0
	v_mul_f32_e32 v0, v107, v0
	s_mov_b32 s0, 0x30abee4d
	v_fma_f32 v0, v106, v1, -v0
	v_cvt_f64_f32_e32 v[8:9], v8
	s_mov_b32 s1, 0x3f443a27
	v_cvt_f64_f32_e32 v[0:1], v0
	v_mul_f64 v[8:9], v[8:9], s[0:1]
	v_mul_f64 v[0:1], v[0:1], s[0:1]
	v_cvt_f32_f64_e32 v8, v[8:9]
	v_cvt_f32_f64_e32 v9, v[0:1]
	v_mad_u64_u32 v[0:1], s[2:3], s8, v84, 0
	v_mov_b32_e32 v10, v1
	v_mov_b32_e32 v4, s16
	v_mov_b32_e32 v5, s17
	v_mad_u64_u32 v[10:11], s[2:3], s9, v84, v[10:11]
	v_mov_b32_e32 v1, v10
	v_lshl_add_u64 v[4:5], v[6:7], 3, v[4:5]
	v_lshl_add_u64 v[4:5], v[0:1], 3, v[4:5]
	v_mul_f32_e32 v0, v105, v3
	v_fmac_f32_e32 v0, v104, v2
	v_cvt_f64_f32_e32 v[0:1], v0
	v_mul_f64 v[0:1], v[0:1], s[0:1]
	v_cvt_f32_f64_e32 v6, v[0:1]
	v_mul_f32_e32 v0, v105, v2
	v_fma_f32 v0, v104, v3, -v0
	v_cvt_f64_f32_e32 v[0:1], v0
	v_mul_f64 v[0:1], v[0:1], s[0:1]
	v_cvt_f32_f64_e32 v7, v[0:1]
	v_add_u32_e32 v0, 0x800, v82
	ds_read2_b64 v[0:3], v0 offset0:68 offset1:230
	global_store_dwordx2 v[4:5], v[8:9], off
	v_mov_b32_e32 v8, 0x510
	v_mad_u64_u32 v[4:5], s[2:3], s8, v8, v[4:5]
	s_mul_i32 s4, s9, 0x510
	v_add_u32_e32 v5, s4, v5
	global_store_dwordx2 v[4:5], v[6:7], off
	s_waitcnt lgkmcnt(0)
	v_mul_f32_e32 v6, v101, v1
	v_fmac_f32_e32 v6, v100, v0
	v_mul_f32_e32 v0, v101, v0
	v_fma_f32 v0, v100, v1, -v0
	v_cvt_f64_f32_e32 v[6:7], v6
	v_cvt_f64_f32_e32 v[0:1], v0
	v_mul_f64 v[6:7], v[6:7], s[0:1]
	v_mul_f64 v[0:1], v[0:1], s[0:1]
	v_cvt_f32_f64_e32 v6, v[6:7]
	v_cvt_f32_f64_e32 v7, v[0:1]
	v_mul_f32_e32 v0, v97, v3
	v_fmac_f32_e32 v0, v96, v2
	v_mad_u64_u32 v[4:5], s[2:3], s8, v8, v[4:5]
	v_cvt_f64_f32_e32 v[0:1], v0
	v_add_u32_e32 v5, s4, v5
	v_mul_f64 v[0:1], v[0:1], s[0:1]
	global_store_dwordx2 v[4:5], v[6:7], off
	v_cvt_f32_f64_e32 v6, v[0:1]
	v_mul_f32_e32 v0, v97, v2
	v_fma_f32 v0, v96, v3, -v0
	v_cvt_f64_f32_e32 v[0:1], v0
	v_mul_f64 v[0:1], v[0:1], s[0:1]
	v_cvt_f32_f64_e32 v7, v[0:1]
	v_add_u32_e32 v0, 0x1400, v82
	ds_read2_b64 v[0:3], v0 offset0:8 offset1:170
	v_mad_u64_u32 v[4:5], s[2:3], s8, v8, v[4:5]
	v_add_u32_e32 v5, s4, v5
	global_store_dwordx2 v[4:5], v[6:7], off
	s_waitcnt lgkmcnt(0)
	v_mul_f32_e32 v6, v103, v1
	v_fmac_f32_e32 v6, v102, v0
	v_mul_f32_e32 v0, v103, v0
	v_fma_f32 v0, v102, v1, -v0
	v_cvt_f64_f32_e32 v[6:7], v6
	v_cvt_f64_f32_e32 v[0:1], v0
	v_mul_f64 v[6:7], v[6:7], s[0:1]
	v_mul_f64 v[0:1], v[0:1], s[0:1]
	v_cvt_f32_f64_e32 v6, v[6:7]
	v_cvt_f32_f64_e32 v7, v[0:1]
	v_mul_f32_e32 v0, v99, v3
	v_fmac_f32_e32 v0, v98, v2
	v_mad_u64_u32 v[4:5], s[2:3], s8, v8, v[4:5]
	v_cvt_f64_f32_e32 v[0:1], v0
	v_add_u32_e32 v5, s4, v5
	v_mul_f64 v[0:1], v[0:1], s[0:1]
	global_store_dwordx2 v[4:5], v[6:7], off
	v_cvt_f32_f64_e32 v6, v[0:1]
	v_mul_f32_e32 v0, v99, v2
	v_fma_f32 v0, v98, v3, -v0
	v_cvt_f64_f32_e32 v[0:1], v0
	v_mul_f64 v[0:1], v[0:1], s[0:1]
	v_cvt_f32_f64_e32 v7, v[0:1]
	v_add_u32_e32 v0, 0x1c00, v82
	ds_read2_b64 v[0:3], v0 offset0:76 offset1:238
	v_mad_u64_u32 v[4:5], s[2:3], s8, v8, v[4:5]
	;; [unrolled: 29-line block ×3, first 2 shown]
	v_add_u32_e32 v5, s4, v5
	global_store_dwordx2 v[4:5], v[6:7], off
	s_waitcnt lgkmcnt(0)
	v_mul_f32_e32 v6, v89, v1
	v_fmac_f32_e32 v6, v88, v0
	v_mul_f32_e32 v0, v89, v0
	v_fma_f32 v0, v88, v1, -v0
	v_cvt_f64_f32_e32 v[6:7], v6
	v_cvt_f64_f32_e32 v[0:1], v0
	v_mul_f64 v[6:7], v[6:7], s[0:1]
	v_mul_f64 v[0:1], v[0:1], s[0:1]
	v_cvt_f32_f64_e32 v6, v[6:7]
	v_cvt_f32_f64_e32 v7, v[0:1]
	v_mad_u64_u32 v[0:1], s[2:3], s8, v8, v[4:5]
	v_mul_f32_e32 v4, v87, v3
	v_fmac_f32_e32 v4, v86, v2
	v_mul_f32_e32 v2, v87, v2
	v_fma_f32 v2, v86, v3, -v2
	v_add_u32_e32 v1, s4, v1
	v_cvt_f64_f32_e32 v[4:5], v4
	v_cvt_f64_f32_e32 v[2:3], v2
	global_store_dwordx2 v[0:1], v[6:7], off
	v_mul_f64 v[4:5], v[4:5], s[0:1]
	v_mul_f64 v[2:3], v[2:3], s[0:1]
	v_mad_u64_u32 v[0:1], s[0:1], s8, v8, v[0:1]
	v_cvt_f32_f64_e32 v4, v[4:5]
	v_cvt_f32_f64_e32 v5, v[2:3]
	v_add_u32_e32 v1, s4, v1
	global_store_dwordx2 v[0:1], v[4:5], off
.LBB0_36:
	s_endpgm
	.section	.rodata,"a",@progbits
	.p2align	6, 0x0
	.amdhsa_kernel bluestein_single_fwd_len1620_dim1_sp_op_CI_CI
		.amdhsa_group_segment_fixed_size 12960
		.amdhsa_private_segment_fixed_size 0
		.amdhsa_kernarg_size 104
		.amdhsa_user_sgpr_count 2
		.amdhsa_user_sgpr_dispatch_ptr 0
		.amdhsa_user_sgpr_queue_ptr 0
		.amdhsa_user_sgpr_kernarg_segment_ptr 1
		.amdhsa_user_sgpr_dispatch_id 0
		.amdhsa_user_sgpr_kernarg_preload_length 0
		.amdhsa_user_sgpr_kernarg_preload_offset 0
		.amdhsa_user_sgpr_private_segment_size 0
		.amdhsa_uses_dynamic_stack 0
		.amdhsa_enable_private_segment 0
		.amdhsa_system_sgpr_workgroup_id_x 1
		.amdhsa_system_sgpr_workgroup_id_y 0
		.amdhsa_system_sgpr_workgroup_id_z 0
		.amdhsa_system_sgpr_workgroup_info 0
		.amdhsa_system_vgpr_workitem_id 0
		.amdhsa_next_free_vgpr 170
		.amdhsa_next_free_sgpr 22
		.amdhsa_accum_offset 172
		.amdhsa_reserve_vcc 1
		.amdhsa_float_round_mode_32 0
		.amdhsa_float_round_mode_16_64 0
		.amdhsa_float_denorm_mode_32 3
		.amdhsa_float_denorm_mode_16_64 3
		.amdhsa_dx10_clamp 1
		.amdhsa_ieee_mode 1
		.amdhsa_fp16_overflow 0
		.amdhsa_tg_split 0
		.amdhsa_exception_fp_ieee_invalid_op 0
		.amdhsa_exception_fp_denorm_src 0
		.amdhsa_exception_fp_ieee_div_zero 0
		.amdhsa_exception_fp_ieee_overflow 0
		.amdhsa_exception_fp_ieee_underflow 0
		.amdhsa_exception_fp_ieee_inexact 0
		.amdhsa_exception_int_div_zero 0
	.end_amdhsa_kernel
	.text
.Lfunc_end0:
	.size	bluestein_single_fwd_len1620_dim1_sp_op_CI_CI, .Lfunc_end0-bluestein_single_fwd_len1620_dim1_sp_op_CI_CI
                                        ; -- End function
	.section	.AMDGPU.csdata,"",@progbits
; Kernel info:
; codeLenInByte = 12448
; NumSgprs: 28
; NumVgprs: 170
; NumAgprs: 0
; TotalNumVgprs: 170
; ScratchSize: 0
; MemoryBound: 0
; FloatMode: 240
; IeeeMode: 1
; LDSByteSize: 12960 bytes/workgroup (compile time only)
; SGPRBlocks: 3
; VGPRBlocks: 21
; NumSGPRsForWavesPerEU: 28
; NumVGPRsForWavesPerEU: 170
; AccumOffset: 172
; Occupancy: 2
; WaveLimiterHint : 1
; COMPUTE_PGM_RSRC2:SCRATCH_EN: 0
; COMPUTE_PGM_RSRC2:USER_SGPR: 2
; COMPUTE_PGM_RSRC2:TRAP_HANDLER: 0
; COMPUTE_PGM_RSRC2:TGID_X_EN: 1
; COMPUTE_PGM_RSRC2:TGID_Y_EN: 0
; COMPUTE_PGM_RSRC2:TGID_Z_EN: 0
; COMPUTE_PGM_RSRC2:TIDIG_COMP_CNT: 0
; COMPUTE_PGM_RSRC3_GFX90A:ACCUM_OFFSET: 42
; COMPUTE_PGM_RSRC3_GFX90A:TG_SPLIT: 0
	.text
	.p2alignl 6, 3212836864
	.fill 256, 4, 3212836864
	.type	__hip_cuid_8e1528ac54ca14cf,@object ; @__hip_cuid_8e1528ac54ca14cf
	.section	.bss,"aw",@nobits
	.globl	__hip_cuid_8e1528ac54ca14cf
__hip_cuid_8e1528ac54ca14cf:
	.byte	0                               ; 0x0
	.size	__hip_cuid_8e1528ac54ca14cf, 1

	.ident	"AMD clang version 19.0.0git (https://github.com/RadeonOpenCompute/llvm-project roc-6.4.0 25133 c7fe45cf4b819c5991fe208aaa96edf142730f1d)"
	.section	".note.GNU-stack","",@progbits
	.addrsig
	.addrsig_sym __hip_cuid_8e1528ac54ca14cf
	.amdgpu_metadata
---
amdhsa.kernels:
  - .agpr_count:     0
    .args:
      - .actual_access:  read_only
        .address_space:  global
        .offset:         0
        .size:           8
        .value_kind:     global_buffer
      - .actual_access:  read_only
        .address_space:  global
        .offset:         8
        .size:           8
        .value_kind:     global_buffer
      - .actual_access:  read_only
        .address_space:  global
        .offset:         16
        .size:           8
        .value_kind:     global_buffer
      - .actual_access:  read_only
        .address_space:  global
        .offset:         24
        .size:           8
        .value_kind:     global_buffer
      - .actual_access:  read_only
        .address_space:  global
        .offset:         32
        .size:           8
        .value_kind:     global_buffer
      - .offset:         40
        .size:           8
        .value_kind:     by_value
      - .address_space:  global
        .offset:         48
        .size:           8
        .value_kind:     global_buffer
      - .address_space:  global
        .offset:         56
        .size:           8
        .value_kind:     global_buffer
      - .address_space:  global
        .offset:         64
        .size:           8
        .value_kind:     global_buffer
      - .address_space:  global
        .offset:         72
        .size:           8
        .value_kind:     global_buffer
      - .offset:         80
        .size:           4
        .value_kind:     by_value
      - .address_space:  global
        .offset:         88
        .size:           8
        .value_kind:     global_buffer
      - .address_space:  global
        .offset:         96
        .size:           8
        .value_kind:     global_buffer
    .group_segment_fixed_size: 12960
    .kernarg_segment_align: 8
    .kernarg_segment_size: 104
    .language:       OpenCL C
    .language_version:
      - 2
      - 0
    .max_flat_workgroup_size: 162
    .name:           bluestein_single_fwd_len1620_dim1_sp_op_CI_CI
    .private_segment_fixed_size: 0
    .sgpr_count:     28
    .sgpr_spill_count: 0
    .symbol:         bluestein_single_fwd_len1620_dim1_sp_op_CI_CI.kd
    .uniform_work_group_size: 1
    .uses_dynamic_stack: false
    .vgpr_count:     170
    .vgpr_spill_count: 0
    .wavefront_size: 64
amdhsa.target:   amdgcn-amd-amdhsa--gfx950
amdhsa.version:
  - 1
  - 2
...

	.end_amdgpu_metadata
